;; amdgpu-corpus repo=ROCm/rocFFT kind=compiled arch=gfx906 opt=O3
	.text
	.amdgcn_target "amdgcn-amd-amdhsa--gfx906"
	.amdhsa_code_object_version 6
	.protected	fft_rtc_back_len4096_factors_8_16_4_8_wgs_256_tpt_128_halfLds_dim1_sp_ip_CI_sbrr_dirReg ; -- Begin function fft_rtc_back_len4096_factors_8_16_4_8_wgs_256_tpt_128_halfLds_dim1_sp_ip_CI_sbrr_dirReg
	.globl	fft_rtc_back_len4096_factors_8_16_4_8_wgs_256_tpt_128_halfLds_dim1_sp_ip_CI_sbrr_dirReg
	.p2align	8
	.type	fft_rtc_back_len4096_factors_8_16_4_8_wgs_256_tpt_128_halfLds_dim1_sp_ip_CI_sbrr_dirReg,@function
fft_rtc_back_len4096_factors_8_16_4_8_wgs_256_tpt_128_halfLds_dim1_sp_ip_CI_sbrr_dirReg: ; @fft_rtc_back_len4096_factors_8_16_4_8_wgs_256_tpt_128_halfLds_dim1_sp_ip_CI_sbrr_dirReg
; %bb.0:
	s_load_dwordx4 s[16:19], s[4:5], 0x10
	s_load_dwordx2 s[12:13], s[4:5], 0x0
	v_lshrrev_b32_e32 v99, 7, v0
	v_lshl_or_b32 v4, s6, 1, v99
	s_load_dwordx2 s[2:3], s[4:5], 0x48
	s_waitcnt lgkmcnt(0)
	s_load_dwordx4 s[8:11], s[16:17], 0x0
	v_mov_b32_e32 v5, 0
	v_cmp_gt_u64_e32 vcc, s[18:19], v[4:5]
	v_and_b32_e32 v67, 0x7f, v0
                                        ; implicit-def: $sgpr6_sgpr7
                                        ; implicit-def: $vgpr68
                                        ; implicit-def: $vgpr69
                                        ; implicit-def: $vgpr85
                                        ; implicit-def: $vgpr70
                                        ; implicit-def: $vgpr77
                                        ; implicit-def: $vgpr84
                                        ; implicit-def: $vgpr92
                                        ; implicit-def: $vgpr71
                                        ; implicit-def: $vgpr78
                                        ; implicit-def: $vgpr86
                                        ; implicit-def: $vgpr93
                                        ; implicit-def: $vgpr72
                                        ; implicit-def: $vgpr79
                                        ; implicit-def: $vgpr87
                                        ; implicit-def: $vgpr94
                                        ; implicit-def: $vgpr73
                                        ; implicit-def: $vgpr80
                                        ; implicit-def: $vgpr88
                                        ; implicit-def: $vgpr95
                                        ; implicit-def: $vgpr74
                                        ; implicit-def: $vgpr81
                                        ; implicit-def: $vgpr89
                                        ; implicit-def: $vgpr96
                                        ; implicit-def: $vgpr75
                                        ; implicit-def: $vgpr82
                                        ; implicit-def: $vgpr90
                                        ; implicit-def: $vgpr97
                                        ; implicit-def: $vgpr76
                                        ; implicit-def: $vgpr83
                                        ; implicit-def: $vgpr91
                                        ; implicit-def: $vgpr98
	s_waitcnt lgkmcnt(0)
	v_mad_u64_u32 v[1:2], s[0:1], s10, v4, 0
	v_mad_u64_u32 v[2:3], s[0:1], s11, v4, v[2:3]
	v_cmp_le_u64_e64 s[0:1], s[18:19], v[4:5]
	s_and_saveexec_b64 s[4:5], s[0:1]
	s_xor_b64 s[0:1], exec, s[4:5]
	s_cbranch_execz .LBB0_2
; %bb.1:
	v_or_b32_e32 v68, 0x80, v67
	v_or_b32_e32 v69, 0x100, v67
	;; [unrolled: 1-line block ×30, first 2 shown]
	s_mov_b64 s[6:7], 0
	v_or_b32_e32 v98, 0xf80, v0
.LBB0_2:
	s_or_saveexec_b64 s[4:5], s[0:1]
	v_mov_b32_e32 v36, s7
	v_lshlrev_b64 v[1:2], 3, v[1:2]
	v_mov_b32_e32 v66, s7
	v_mov_b32_e32 v64, s7
	;; [unrolled: 1-line block ×31, first 2 shown]
                                        ; implicit-def: $vgpr56
                                        ; implicit-def: $vgpr48
                                        ; implicit-def: $vgpr58
                                        ; implicit-def: $vgpr54
                                        ; implicit-def: $vgpr30
                                        ; implicit-def: $vgpr28
                                        ; implicit-def: $vgpr42
                                        ; implicit-def: $vgpr24
                                        ; implicit-def: $vgpr20
                                        ; implicit-def: $vgpr26
                                        ; implicit-def: $vgpr22
                                        ; implicit-def: $vgpr6
                                        ; implicit-def: $vgpr4
                                        ; implicit-def: $vgpr8
                                        ; implicit-def: $vgpr16
                                        ; implicit-def: $vgpr60
	s_xor_b64 exec, exec, s[4:5]
	s_cbranch_execz .LBB0_4
; %bb.3:
	v_mad_u64_u32 v[3:4], s[0:1], s8, v67, 0
	v_or_b32_e32 v70, 0x200, v67
	v_mov_b32_e32 v7, s3
	v_mad_u64_u32 v[4:5], s[0:1], s9, v67, v[4:5]
	v_mad_u64_u32 v[5:6], s[0:1], s8, v70, 0
	v_add_co_u32_e64 v9, s[0:1], s2, v1
	v_addc_co_u32_e64 v10, s[0:1], v7, v2, s[0:1]
	v_mad_u64_u32 v[6:7], s[0:1], s9, v70, v[6:7]
	v_or_b32_e32 v71, 0x400, v67
	v_mad_u64_u32 v[7:8], s[0:1], s8, v71, 0
	v_lshlrev_b64 v[3:4], 3, v[3:4]
	v_or_b32_e32 v72, 0x600, v67
	v_add_co_u32_e64 v3, s[0:1], v9, v3
	v_addc_co_u32_e64 v4, s[0:1], v10, v4, s[0:1]
	v_mad_u64_u32 v[11:12], s[0:1], s9, v71, v[8:9]
	v_mad_u64_u32 v[12:13], s[0:1], s8, v72, 0
	v_lshlrev_b64 v[5:6], 3, v[5:6]
	v_mov_b32_e32 v8, v11
	v_add_co_u32_e64 v5, s[0:1], v9, v5
	v_mov_b32_e32 v11, v13
	v_addc_co_u32_e64 v6, s[0:1], v10, v6, s[0:1]
	v_mad_u64_u32 v[13:14], s[0:1], s9, v72, v[11:12]
	v_or_b32_e32 v73, 0x800, v67
	v_mad_u64_u32 v[14:15], s[0:1], s8, v73, 0
	v_lshlrev_b64 v[7:8], 3, v[7:8]
	v_lshlrev_b64 v[11:12], 3, v[12:13]
	v_add_co_u32_e64 v7, s[0:1], v9, v7
	v_mov_b32_e32 v13, v15
	v_addc_co_u32_e64 v8, s[0:1], v10, v8, s[0:1]
	v_mad_u64_u32 v[15:16], s[0:1], s9, v73, v[13:14]
	v_or_b32_e32 v74, 0xa00, v67
	v_mad_u64_u32 v[16:17], s[0:1], s8, v74, 0
	v_add_co_u32_e64 v11, s[0:1], v9, v11
	v_lshlrev_b64 v[13:14], 3, v[14:15]
	v_mov_b32_e32 v15, v17
	v_addc_co_u32_e64 v12, s[0:1], v10, v12, s[0:1]
	v_mad_u64_u32 v[17:18], s[0:1], s9, v74, v[15:16]
	v_or_b32_e32 v75, 0xc00, v67
	v_mad_u64_u32 v[18:19], s[0:1], s8, v75, 0
	v_add_co_u32_e64 v13, s[0:1], v9, v13
	v_lshlrev_b64 v[15:16], 3, v[16:17]
	v_mov_b32_e32 v17, v19
	v_addc_co_u32_e64 v14, s[0:1], v10, v14, s[0:1]
	v_mad_u64_u32 v[19:20], s[0:1], s9, v75, v[17:18]
	v_or_b32_e32 v76, 0xe00, v67
	v_mad_u64_u32 v[20:21], s[0:1], s8, v76, 0
	v_add_co_u32_e64 v15, s[0:1], v9, v15
	v_lshlrev_b64 v[17:18], 3, v[18:19]
	v_mov_b32_e32 v19, v21
	v_addc_co_u32_e64 v16, s[0:1], v10, v16, s[0:1]
	v_mad_u64_u32 v[21:22], s[0:1], s9, v76, v[19:20]
	v_or_b32_e32 v68, 0x80, v67
	v_mad_u64_u32 v[22:23], s[0:1], s8, v68, 0
	v_add_co_u32_e64 v17, s[0:1], v9, v17
	v_lshlrev_b64 v[19:20], 3, v[20:21]
	v_mov_b32_e32 v21, v23
	v_addc_co_u32_e64 v18, s[0:1], v10, v18, s[0:1]
	v_mad_u64_u32 v[23:24], s[0:1], s9, v68, v[21:22]
	v_or_b32_e32 v77, 0x280, v67
	v_mad_u64_u32 v[24:25], s[0:1], s8, v77, 0
	v_add_co_u32_e64 v19, s[0:1], v9, v19
	v_lshlrev_b64 v[21:22], 3, v[22:23]
	v_mov_b32_e32 v23, v25
	v_addc_co_u32_e64 v20, s[0:1], v10, v20, s[0:1]
	v_mad_u64_u32 v[25:26], s[0:1], s9, v77, v[23:24]
	v_or_b32_e32 v78, 0x480, v67
	v_mad_u64_u32 v[26:27], s[0:1], s8, v78, 0
	v_add_co_u32_e64 v21, s[0:1], v9, v21
	v_lshlrev_b64 v[23:24], 3, v[24:25]
	v_mov_b32_e32 v25, v27
	v_addc_co_u32_e64 v22, s[0:1], v10, v22, s[0:1]
	v_mad_u64_u32 v[27:28], s[0:1], s9, v78, v[25:26]
	v_or_b32_e32 v79, 0x680, v67
	v_mad_u64_u32 v[28:29], s[0:1], s8, v79, 0
	v_add_co_u32_e64 v23, s[0:1], v9, v23
	v_lshlrev_b64 v[25:26], 3, v[26:27]
	v_mov_b32_e32 v27, v29
	v_addc_co_u32_e64 v24, s[0:1], v10, v24, s[0:1]
	v_mad_u64_u32 v[29:30], s[0:1], s9, v79, v[27:28]
	v_or_b32_e32 v80, 0x880, v67
	v_mad_u64_u32 v[30:31], s[0:1], s8, v80, 0
	v_add_co_u32_e64 v25, s[0:1], v9, v25
	v_lshlrev_b64 v[27:28], 3, v[28:29]
	v_mov_b32_e32 v29, v31
	v_addc_co_u32_e64 v26, s[0:1], v10, v26, s[0:1]
	v_mad_u64_u32 v[31:32], s[0:1], s9, v80, v[29:30]
	v_or_b32_e32 v81, 0xa80, v67
	v_mad_u64_u32 v[32:33], s[0:1], s8, v81, 0
	v_add_co_u32_e64 v37, s[0:1], v9, v27
	v_mov_b32_e32 v29, v33
	v_addc_co_u32_e64 v38, s[0:1], v10, v28, s[0:1]
	v_lshlrev_b64 v[27:28], 3, v[30:31]
	v_mad_u64_u32 v[29:30], s[0:1], s9, v81, v[29:30]
	v_or_b32_e32 v82, 0xc80, v67
	v_mad_u64_u32 v[30:31], s[0:1], s8, v82, 0
	v_add_co_u32_e64 v39, s[0:1], v9, v27
	v_mov_b32_e32 v33, v29
	v_mov_b32_e32 v29, v31
	v_addc_co_u32_e64 v40, s[0:1], v10, v28, s[0:1]
	v_lshlrev_b64 v[27:28], 3, v[32:33]
	v_mad_u64_u32 v[31:32], s[0:1], s9, v82, v[29:30]
	v_or_b32_e32 v83, 0xe80, v67
	v_mad_u64_u32 v[32:33], s[0:1], s8, v83, 0
	v_add_co_u32_e64 v41, s[0:1], v9, v27
	v_mov_b32_e32 v29, v33
	v_addc_co_u32_e64 v42, s[0:1], v10, v28, s[0:1]
	v_lshlrev_b64 v[27:28], 3, v[30:31]
	v_mad_u64_u32 v[29:30], s[0:1], s9, v83, v[29:30]
	v_or_b32_e32 v69, 0x100, v67
	v_mad_u64_u32 v[30:31], s[0:1], s8, v69, 0
	v_add_co_u32_e64 v100, s[0:1], v9, v27
	v_mov_b32_e32 v33, v29
	v_mov_b32_e32 v29, v31
	v_addc_co_u32_e64 v101, s[0:1], v10, v28, s[0:1]
	v_lshlrev_b64 v[27:28], 3, v[32:33]
	;; [unrolled: 15-line block ×9, first 2 shown]
	v_mad_u64_u32 v[31:32], s[0:1], s9, v97, v[29:30]
	v_or_b32_e32 v98, 0xf80, v0
	v_mad_u64_u32 v[32:33], s[0:1], s8, v98, 0
	v_add_co_u32_e64 v130, s[0:1], v9, v27
	v_mov_b32_e32 v29, v33
	v_addc_co_u32_e64 v131, s[0:1], v10, v28, s[0:1]
	v_lshlrev_b64 v[27:28], 3, v[30:31]
	v_mad_u64_u32 v[29:30], s[0:1], s9, v98, v[29:30]
	v_add_co_u32_e64 v132, s[0:1], v9, v27
	v_mov_b32_e32 v33, v29
	v_addc_co_u32_e64 v133, s[0:1], v10, v28, s[0:1]
	v_lshlrev_b64 v[27:28], 3, v[32:33]
	v_add_co_u32_e64 v134, s[0:1], v9, v27
	v_addc_co_u32_e64 v135, s[0:1], v10, v28, s[0:1]
	global_load_dwordx2 v[35:36], v[3:4], off
	global_load_dwordx2 v[63:64], v[5:6], off
	;; [unrolled: 1-line block ×14, first 2 shown]
                                        ; kill: killed $vgpr5 killed $vgpr6
                                        ; kill: killed $vgpr41 killed $vgpr42
                                        ; kill: killed $vgpr37 killed $vgpr38
                                        ; kill: killed $vgpr13 killed $vgpr14
                                        ; kill: killed $vgpr3 killed $vgpr4
                                        ; kill: killed $vgpr15 killed $vgpr16
                                        ; kill: killed $vgpr25 killed $vgpr26
                                        ; kill: killed $vgpr11 killed $vgpr12
                                        ; kill: killed $vgpr17 killed $vgpr18
                                        ; kill: killed $vgpr23 killed $vgpr24
                                        ; kill: killed $vgpr7 killed $vgpr8
                                        ; kill: killed $vgpr19 killed $vgpr20
                                        ; kill: killed $vgpr39 killed $vgpr40
                                        ; kill: killed $vgpr21 killed $vgpr22
	s_nop 0
	global_load_dwordx2 v[41:42], v[100:101], off
	global_load_dwordx2 v[59:60], v[102:103], off
	;; [unrolled: 1-line block ×14, first 2 shown]
                                        ; kill: killed $vgpr116 killed $vgpr117
                                        ; kill: killed $vgpr122 killed $vgpr123
                                        ; kill: killed $vgpr108 killed $vgpr109
                                        ; kill: killed $vgpr118 killed $vgpr119
                                        ; kill: killed $vgpr100 killed $vgpr101
                                        ; kill: killed $vgpr120 killed $vgpr121
                                        ; kill: killed $vgpr106 killed $vgpr107
                                        ; kill: killed $vgpr102 killed $vgpr103
                                        ; kill: killed $vgpr126 killed $vgpr127
                                        ; kill: killed $vgpr112 killed $vgpr113
                                        ; kill: killed $vgpr104 killed $vgpr105
                                        ; kill: killed $vgpr114 killed $vgpr115
                                        ; kill: killed $vgpr124 killed $vgpr125
                                        ; kill: killed $vgpr110 killed $vgpr111
	global_load_dwordx2 v[5:6], v[128:129], off
	global_load_dwordx2 v[3:4], v[130:131], off
	;; [unrolled: 1-line block ×4, first 2 shown]
.LBB0_4:
	s_or_b64 exec, exec, s[4:5]
	s_waitcnt vmcnt(27)
	v_sub_f32_e32 v56, v36, v56
	s_waitcnt vmcnt(25)
	v_sub_f32_e32 v58, v66, v58
	v_sub_f32_e32 v47, v63, v47
	;; [unrolled: 1-line block ×3, first 2 shown]
	s_waitcnt vmcnt(24)
	v_sub_f32_e32 v53, v61, v53
	v_sub_f32_e32 v54, v62, v54
	;; [unrolled: 1-line block ×3, first 2 shown]
	v_fma_f32 v36, v36, 2.0, -v56
	v_fma_f32 v66, v66, 2.0, -v58
	;; [unrolled: 1-line block ×6, first 2 shown]
	v_sub_f32_e32 v57, v65, v57
	v_sub_f32_e32 v66, v36, v66
	v_add_f32_e32 v101, v55, v58
	v_sub_f32_e32 v58, v63, v61
	v_sub_f32_e32 v61, v64, v62
	v_fma_f32 v35, v35, 2.0, -v55
	v_fma_f32 v65, v65, 2.0, -v57
	;; [unrolled: 1-line block ×3, first 2 shown]
	v_sub_f32_e32 v102, v56, v57
	v_fma_f32 v57, v55, 2.0, -v101
	v_fma_f32 v55, v64, 2.0, -v61
	v_add_f32_e32 v64, v47, v54
	v_sub_f32_e32 v103, v48, v53
	v_sub_f32_e32 v53, v36, v55
	v_fma_f32 v62, v47, 2.0, -v64
	v_fma_f32 v55, v36, 2.0, -v53
	v_mov_b32_e32 v36, v57
	v_fma_f32 v56, v56, 2.0, -v102
	v_fma_f32 v48, v48, 2.0, -v103
	v_fmac_f32_e32 v36, 0xbf3504f3, v62
	v_sub_f32_e32 v65, v35, v65
	v_mov_b32_e32 v54, v56
	v_fmac_f32_e32 v36, 0x3f3504f3, v48
	v_fma_f32 v100, v35, 2.0, -v65
	v_fma_f32 v35, v63, 2.0, -v58
	v_fmac_f32_e32 v54, 0xbf3504f3, v48
	v_fma_f32 v48, v57, 2.0, -v36
	v_add_f32_e32 v57, v65, v61
	v_sub_f32_e32 v61, v66, v58
	v_mov_b32_e32 v58, v101
	s_waitcnt vmcnt(19)
	v_sub_f32_e32 v29, v51, v29
	v_sub_f32_e32 v30, v52, v30
	s_waitcnt vmcnt(17)
	v_sub_f32_e32 v41, v49, v41
	v_sub_f32_e32 v42, v50, v42
	;; [unrolled: 1-line block ×3, first 2 shown]
	v_fmac_f32_e32 v54, 0xbf3504f3, v62
	v_fmac_f32_e32 v58, 0x3f3504f3, v64
	v_mov_b32_e32 v62, v102
	v_fma_f32 v51, v51, 2.0, -v29
	v_fma_f32 v52, v52, 2.0, -v30
	;; [unrolled: 1-line block ×4, first 2 shown]
	v_sub_f32_e32 v27, v45, v27
	v_sub_f32_e32 v28, v46, v28
	s_waitcnt vmcnt(16)
	v_sub_f32_e32 v59, v43, v59
	v_sub_f32_e32 v60, v44, v60
	v_fma_f32 v47, v100, 2.0, -v35
	v_fmac_f32_e32 v62, 0x3f3504f3, v103
	v_fmac_f32_e32 v58, 0x3f3504f3, v103
	v_fma_f32 v45, v45, 2.0, -v27
	v_fma_f32 v46, v46, 2.0, -v28
	;; [unrolled: 1-line block ×4, first 2 shown]
	v_sub_f32_e32 v49, v51, v49
	v_sub_f32_e32 v100, v52, v50
	v_fmac_f32_e32 v62, 0xbf3504f3, v64
	v_fma_f32 v64, v101, 2.0, -v58
	v_fma_f32 v50, v51, 2.0, -v49
	;; [unrolled: 1-line block ×3, first 2 shown]
	v_add_f32_e32 v52, v29, v42
	v_sub_f32_e32 v101, v30, v41
	v_sub_f32_e32 v103, v45, v43
	;; [unrolled: 1-line block ×3, first 2 shown]
	v_fma_f32 v63, v65, 2.0, -v57
	v_fma_f32 v65, v66, 2.0, -v61
	;; [unrolled: 1-line block ×7, first 2 shown]
	v_add_f32_e32 v60, v27, v60
	v_sub_f32_e32 v105, v28, v59
	v_fma_f32 v44, v27, 2.0, -v60
	v_sub_f32_e32 v27, v50, v29
	v_sub_f32_e32 v29, v51, v30
	v_mov_b32_e32 v46, v52
	v_fma_f32 v45, v28, 2.0, -v105
	v_fma_f32 v43, v51, 2.0, -v29
	v_mov_b32_e32 v28, v42
	v_mov_b32_e32 v30, v102
	v_fmac_f32_e32 v46, 0x3f3504f3, v60
	v_mov_b32_e32 v51, v101
	v_fmac_f32_e32 v28, 0xbf3504f3, v44
	v_fmac_f32_e32 v30, 0xbf3504f3, v45
	;; [unrolled: 1-line block ×4, first 2 shown]
	s_waitcnt vmcnt(11)
	v_sub_f32_e32 v24, v40, v24
	s_waitcnt vmcnt(9)
	v_sub_f32_e32 v25, v37, v25
	v_sub_f32_e32 v19, v33, v19
	s_waitcnt vmcnt(8)
	v_sub_f32_e32 v21, v31, v21
	v_fmac_f32_e32 v28, 0x3f3504f3, v45
	v_fmac_f32_e32 v30, 0xbf3504f3, v44
	v_add_f32_e32 v45, v49, v104
	v_fmac_f32_e32 v51, 0xbf3504f3, v60
	v_fma_f32 v60, v52, 2.0, -v46
	v_sub_f32_e32 v23, v39, v23
	v_sub_f32_e32 v26, v38, v26
	;; [unrolled: 1-line block ×3, first 2 shown]
	v_fma_f32 v33, v33, 2.0, -v19
	v_fma_f32 v31, v31, 2.0, -v21
	v_sub_f32_e32 v52, v24, v25
	v_fma_f32 v41, v50, 2.0, -v27
	v_fma_f32 v44, v102, 2.0, -v30
	v_sub_f32_e32 v50, v100, v103
	v_fma_f32 v59, v49, 2.0, -v45
	v_sub_f32_e32 v22, v32, v22
	v_add_f32_e32 v49, v23, v26
	v_fma_f32 v102, v24, 2.0, -v52
	v_sub_f32_e32 v103, v33, v31
	v_sub_f32_e32 v105, v20, v21
	v_fma_f32 v39, v39, 2.0, -v23
	v_fma_f32 v38, v38, 2.0, -v26
	;; [unrolled: 1-line block ×6, first 2 shown]
	v_add_f32_e32 v104, v19, v22
	v_fma_f32 v33, v20, 2.0, -v105
	v_mov_b32_e32 v22, v102
	v_fma_f32 v37, v37, 2.0, -v25
	v_sub_f32_e32 v31, v34, v32
	v_fma_f32 v32, v19, 2.0, -v104
	v_mov_b32_e32 v20, v26
	v_fmac_f32_e32 v22, 0xbf3504f3, v33
	v_fma_f32 v40, v40, 2.0, -v24
	v_sub_f32_e32 v37, v39, v37
	v_fmac_f32_e32 v20, 0xbf3504f3, v32
	v_fmac_f32_e32 v22, 0xbf3504f3, v32
	v_mov_b32_e32 v32, v49
	v_sub_f32_e32 v38, v40, v38
	v_fma_f32 v39, v39, 2.0, -v37
	v_fma_f32 v24, v34, 2.0, -v31
	v_fmac_f32_e32 v32, 0x3f3504f3, v104
	v_mov_b32_e32 v34, v52
	s_waitcnt vmcnt(3)
	v_sub_f32_e32 v5, v17, v5
	v_sub_f32_e32 v6, v18, v6
	s_waitcnt vmcnt(1)
	v_sub_f32_e32 v7, v13, v7
	v_sub_f32_e32 v8, v14, v8
	v_sub_f32_e32 v4, v12, v4
	s_waitcnt vmcnt(0)
	v_sub_f32_e32 v16, v10, v16
	v_fma_f32 v40, v40, 2.0, -v38
	v_sub_f32_e32 v19, v39, v23
	v_fmac_f32_e32 v20, 0x3f3504f3, v33
	v_sub_f32_e32 v33, v38, v103
	v_fmac_f32_e32 v34, 0x3f3504f3, v105
	v_fmac_f32_e32 v32, 0x3f3504f3, v105
	v_fma_f32 v17, v17, 2.0, -v5
	v_fma_f32 v18, v18, 2.0, -v6
	;; [unrolled: 1-line block ×6, first 2 shown]
	v_sub_f32_e32 v21, v40, v24
	v_fma_f32 v23, v39, 2.0, -v19
	v_fma_f32 v39, v38, 2.0, -v33
	v_fmac_f32_e32 v34, 0xbf3504f3, v104
	v_fma_f32 v38, v49, 2.0, -v32
	v_sub_f32_e32 v3, v11, v3
	v_sub_f32_e32 v15, v9, v15
	;; [unrolled: 1-line block ×5, first 2 shown]
	v_fma_f32 v25, v40, 2.0, -v21
	v_fma_f32 v40, v52, 2.0, -v34
	;; [unrolled: 1-line block ×6, first 2 shown]
	v_add_f32_e32 v18, v5, v8
	v_sub_f32_e32 v52, v6, v7
	v_fma_f32 v7, v12, 2.0, -v104
	v_add_f32_e32 v12, v13, v104
	v_fma_f32 v5, v5, 2.0, -v18
	v_sub_f32_e32 v103, v11, v9
	v_add_f32_e32 v105, v3, v16
	v_sub_f32_e32 v106, v4, v15
	v_fma_f32 v16, v13, 2.0, -v12
	v_mov_b32_e32 v13, v18
	v_fma_f32 v24, v26, 2.0, -v20
	v_fma_f32 v26, v102, 2.0, -v22
	;; [unrolled: 1-line block ×6, first 2 shown]
	v_mov_b32_e32 v4, v5
	v_fmac_f32_e32 v13, 0x3f3504f3, v105
	v_sub_f32_e32 v3, v14, v6
	v_sub_f32_e32 v6, v17, v7
	v_fmac_f32_e32 v4, 0xbf3504f3, v9
	v_mov_b32_e32 v7, v102
	v_mov_b32_e32 v15, v52
	v_fmac_f32_e32 v13, 0x3f3504f3, v106
	v_fma_f32 v10, v17, 2.0, -v6
	v_fmac_f32_e32 v7, 0xbf3504f3, v11
	v_fmac_f32_e32 v4, 0x3f3504f3, v11
	;; [unrolled: 1-line block ×3, first 2 shown]
	v_fma_f32 v17, v18, 2.0, -v13
	v_lshlrev_b32_e32 v18, 14, v99
	v_fmac_f32_e32 v7, 0xbf3504f3, v9
	v_fma_f32 v9, v5, 2.0, -v4
	v_fmac_f32_e32 v15, 0xbf3504f3, v105
	v_add_u32_e32 v5, 0, v18
	v_fma_f32 v8, v14, 2.0, -v3
	v_sub_f32_e32 v14, v49, v103
	v_fma_f32 v103, v52, 2.0, -v15
	v_lshl_add_u32 v52, v67, 5, v5
	v_fma_f32 v42, v42, 2.0, -v28
	v_add_f32_e32 v31, v37, v31
	ds_write2_b64 v52, v[47:48], v[63:64] offset1:1
	ds_write2_b64 v52, v[35:36], v[57:58] offset0:2 offset1:3
	v_lshl_add_u32 v48, v68, 5, v5
	v_fma_f32 v37, v37, 2.0, -v31
	ds_write2_b64 v48, v[41:42], v[59:60] offset1:1
	ds_write2_b64 v48, v[27:28], v[45:46] offset0:2 offset1:3
	v_lshl_add_u32 v27, v69, 5, v5
	ds_write2_b64 v27, v[23:24], v[37:38] offset1:1
	ds_write2_b64 v27, v[19:20], v[31:32] offset0:2 offset1:3
	v_lshl_add_u32 v19, v85, 5, v5
	ds_write2_b64 v19, v[8:9], v[16:17] offset1:1
	ds_write2_b64 v19, v[3:4], v[12:13] offset0:2 offset1:3
	v_lshlrev_b32_e32 v3, 2, v67
	v_fma_f32 v56, v56, 2.0, -v54
	v_fma_f32 v11, v102, 2.0, -v7
	;; [unrolled: 1-line block ×3, first 2 shown]
	v_add_u32_e32 v47, v5, v3
	s_movk_i32 s0, 0xffe4
	v_add3_u32 v49, 0, v3, v18
	v_fma_f32 v100, v100, 2.0, -v50
	v_fma_f32 v101, v101, 2.0, -v51
	s_waitcnt lgkmcnt(0)
	s_barrier
	v_mad_i32_i24 v17, v69, s0, v27
	ds_read2st64_b32 v[41:42], v49 offset0:8 offset1:10
	ds_read2st64_b32 v[35:36], v49 offset0:12 offset1:14
	;; [unrolled: 1-line block ×14, first 2 shown]
	v_lshl_add_u32 v3, v68, 2, v5
	v_mad_i32_i24 v4, v85, s0, v19
	ds_read_b32 v118, v47
	ds_read_b32 v119, v17
	ds_read_b32 v120, v3
	ds_read_b32 v121, v4
	s_waitcnt lgkmcnt(0)
	s_barrier
	ds_write2_b64 v52, v[55:56], v[65:66] offset1:1
	ds_write2_b64 v52, v[53:54], v[61:62] offset0:2 offset1:3
	ds_write2_b64 v48, v[43:44], v[100:101] offset1:1
	ds_write2_b64 v48, v[29:30], v[50:51] offset0:2 offset1:3
	;; [unrolled: 2-line block ×4, first 2 shown]
	v_and_b32_e32 v6, 7, v0
	v_mul_u32_u24_e32 v7, 15, v6
	v_lshlrev_b32_e32 v48, 3, v7
	s_waitcnt lgkmcnt(0)
	s_barrier
	global_load_dwordx4 v[7:10], v48, s[12:13] offset:16
	global_load_dwordx4 v[11:14], v48, s[12:13] offset:32
	;; [unrolled: 1-line block ×3, first 2 shown]
	global_load_dwordx4 v[22:25], v48, s[12:13]
	global_load_dwordx4 v[26:29], v48, s[12:13] offset:64
	global_load_dwordx4 v[30:33], v48, s[12:13] offset:80
	ds_read2st64_b32 v[15:16], v49 offset0:8 offset1:10
	ds_read2st64_b32 v[39:40], v49 offset0:12 offset1:14
	ds_read2st64_b32 v[43:44], v49 offset0:16 offset1:18
	ds_read2st64_b32 v[50:51], v49 offset0:20 offset1:22
	ds_read2st64_b32 v[52:53], v49 offset0:24 offset1:26
	ds_read2st64_b32 v[54:55], v49 offset0:28 offset1:30
	ds_read2st64_b32 v[61:62], v49 offset0:32 offset1:34
	ds_read2st64_b32 v[65:66], v49 offset0:36 offset1:38
	ds_read2st64_b32 v[99:100], v49 offset0:40 offset1:42
	s_movk_i32 s0, 0x780
	v_lshl_add_u32 v72, v72, 2, v5
	v_lshl_add_u32 v79, v79, 2, v5
	;; [unrolled: 1-line block ×14, first 2 shown]
	s_waitcnt vmcnt(5) lgkmcnt(7)
	v_mul_f32_e32 v56, v39, v8
	v_mul_f32_e32 v34, v35, v8
	s_waitcnt lgkmcnt(6)
	v_mul_f32_e32 v103, v43, v10
	v_mul_f32_e32 v123, v40, v8
	v_fmac_f32_e32 v56, v35, v7
	v_fma_f32 v39, v39, v7, -v34
	v_fmac_f32_e32 v103, v37, v9
	v_mul_f32_e32 v122, v37, v10
	v_fmac_f32_e32 v123, v36, v7
	v_mul_f32_e32 v8, v36, v8
	global_load_dwordx2 v[101:102], v48, s[12:13] offset:112
	global_load_dwordx4 v[34:37], v48, s[12:13] offset:96
	v_mul_f32_e32 v48, v44, v10
	v_mul_f32_e32 v10, v38, v10
	v_fmac_f32_e32 v48, v38, v9
	v_fma_f32 v38, v43, v9, -v122
	v_fma_f32 v43, v44, v9, -v10
	s_waitcnt vmcnt(6) lgkmcnt(5)
	v_mul_f32_e32 v44, v50, v12
	v_fmac_f32_e32 v44, v45, v11
	v_mul_f32_e32 v45, v45, v12
	v_fma_f32 v45, v50, v11, -v45
	s_waitcnt lgkmcnt(4)
	v_mul_f32_e32 v50, v52, v14
	v_mul_f32_e32 v122, v51, v12
	v_fmac_f32_e32 v50, v57, v13
	v_fmac_f32_e32 v122, v46, v11
	v_mul_f32_e32 v12, v46, v12
	v_mul_f32_e32 v46, v57, v14
	;; [unrolled: 1-line block ×4, first 2 shown]
	v_fmac_f32_e32 v57, v58, v13
	v_fma_f32 v46, v52, v13, -v46
	v_fma_f32 v52, v53, v13, -v14
	s_waitcnt vmcnt(5) lgkmcnt(3)
	v_mul_f32_e32 v53, v54, v19
	v_mul_f32_e32 v58, v59, v19
	v_fmac_f32_e32 v53, v59, v18
	v_fma_f32 v54, v54, v18, -v58
	s_waitcnt lgkmcnt(2)
	v_mul_f32_e32 v58, v61, v21
	v_mul_f32_e32 v59, v55, v19
	;; [unrolled: 1-line block ×3, first 2 shown]
	v_fma_f32 v40, v40, v7, -v8
	ds_read2st64_b32 v[7:8], v49 offset0:44 offset1:46
	ds_read2st64_b32 v[9:10], v49 offset0:48 offset1:50
	v_fma_f32 v51, v51, v11, -v12
	ds_read2st64_b32 v[11:12], v49 offset0:52 offset1:54
	ds_read2st64_b32 v[13:14], v49 offset0:56 offset1:58
	v_fmac_f32_e32 v58, v63, v20
	v_fmac_f32_e32 v59, v60, v18
	v_mul_f32_e32 v60, v63, v21
	v_fma_f32 v55, v55, v18, -v19
	v_mul_f32_e32 v63, v62, v21
	v_mul_f32_e32 v18, v64, v21
	ds_read_b32 v21, v47
	ds_read_b32 v19, v17
	v_fmac_f32_e32 v63, v64, v20
	v_fma_f32 v60, v61, v20, -v60
	v_fma_f32 v20, v62, v20, -v18
	s_waitcnt vmcnt(4)
	v_mul_f32_e32 v18, v119, v23
	s_waitcnt lgkmcnt(0)
	v_mul_f32_e32 v64, v19, v23
	ds_read_b32 v61, v3
	ds_read_b32 v62, v4
	v_fmac_f32_e32 v64, v119, v22
	v_fma_f32 v119, v19, v22, -v18
	s_waitcnt vmcnt(3)
	v_mul_f32_e32 v18, v104, v27
	v_mul_f32_e32 v124, v65, v27
	v_fma_f32 v65, v65, v26, -v18
	v_mul_f32_e32 v125, v66, v27
	v_mul_f32_e32 v18, v105, v27
	v_fmac_f32_e32 v124, v104, v26
	v_mul_f32_e32 v104, v99, v29
	v_fmac_f32_e32 v125, v105, v26
	v_mul_f32_e32 v27, v106, v29
	v_fma_f32 v26, v66, v26, -v18
	v_mul_f32_e32 v66, v100, v29
	v_mul_f32_e32 v29, v107, v29
	v_fmac_f32_e32 v104, v106, v28
	v_fmac_f32_e32 v66, v107, v28
	v_fma_f32 v27, v99, v28, -v27
	v_fma_f32 v28, v100, v28, -v29
	v_mul_f32_e32 v29, v15, v25
	v_fmac_f32_e32 v29, v41, v24
	v_mul_f32_e32 v41, v41, v25
	v_mul_f32_e32 v100, v16, v25
	;; [unrolled: 1-line block ×3, first 2 shown]
	ds_read2st64_b32 v[18:19], v49 offset0:60 offset1:62
	v_fma_f32 v16, v16, v24, -v25
	s_waitcnt lgkmcnt(1)
	v_mul_f32_e32 v25, v62, v23
	v_mul_f32_e32 v23, v121, v23
	v_fma_f32 v15, v15, v24, -v41
	s_waitcnt vmcnt(2)
	v_mul_f32_e32 v41, v7, v31
	v_mul_f32_e32 v99, v108, v31
	v_fmac_f32_e32 v25, v121, v22
	v_fma_f32 v22, v62, v22, -v23
	v_mul_f32_e32 v62, v8, v31
	v_mul_f32_e32 v31, v109, v31
	v_fmac_f32_e32 v41, v108, v30
	v_fma_f32 v7, v7, v30, -v99
	v_mul_f32_e32 v99, v9, v33
	v_fmac_f32_e32 v100, v42, v24
	v_mul_f32_e32 v42, v110, v33
	v_fmac_f32_e32 v62, v109, v30
	v_fma_f32 v8, v8, v30, -v31
	v_mul_f32_e32 v30, v10, v33
	v_mul_f32_e32 v31, v111, v33
	v_fmac_f32_e32 v99, v110, v32
	v_fma_f32 v9, v9, v32, -v42
	s_waitcnt vmcnt(0)
	v_mul_f32_e32 v24, v11, v35
	v_mul_f32_e32 v23, v112, v35
	v_fmac_f32_e32 v30, v111, v32
	v_fma_f32 v10, v10, v32, -v31
	v_mul_f32_e32 v31, v12, v35
	v_mul_f32_e32 v32, v113, v35
	v_fmac_f32_e32 v24, v112, v34
	v_fma_f32 v11, v11, v34, -v23
	;; [unrolled: 4-line block ×4, first 2 shown]
	v_mul_f32_e32 v32, v14, v37
	v_fma_f32 v14, v14, v36, -v33
	s_waitcnt lgkmcnt(0)
	v_mul_f32_e32 v33, v19, v102
	v_fma_f32 v19, v19, v101, -v34
	v_sub_f32_e32 v34, v118, v58
	v_sub_f32_e32 v35, v21, v60
	;; [unrolled: 1-line block ×4, first 2 shown]
	v_fma_f32 v58, v103, 2.0, -v37
	v_fma_f32 v38, v38, 2.0, -v9
	v_sub_f32_e32 v60, v29, v104
	v_sub_f32_e32 v27, v15, v27
	;; [unrolled: 1-line block ×4, first 2 shown]
	v_add_f32_e32 v9, v34, v9
	v_sub_f32_e32 v37, v35, v37
	v_mul_f32_e32 v105, v116, v102
	v_fmac_f32_e32 v32, v115, v36
	v_fma_f32 v36, v118, 2.0, -v34
	v_fma_f32 v21, v21, 2.0, -v35
	v_fma_f32 v50, v50, 2.0, -v23
	v_fma_f32 v46, v46, 2.0, -v13
	v_fma_f32 v34, v34, 2.0, -v9
	v_fma_f32 v35, v35, 2.0, -v37
	v_add_f32_e32 v13, v60, v13
	v_sub_f32_e32 v23, v27, v23
	v_mul_f32_e32 v42, v18, v102
	v_fma_f32 v18, v18, v101, -v105
	v_fma_f32 v29, v29, 2.0, -v60
	v_fma_f32 v15, v15, 2.0, -v27
	;; [unrolled: 1-line block ×4, first 2 shown]
	v_mov_b32_e32 v102, v34
	v_mov_b32_e32 v103, v35
	v_fmac_f32_e32 v42, v116, v101
	v_sub_f32_e32 v65, v119, v65
	v_sub_f32_e32 v11, v45, v11
	;; [unrolled: 1-line block ×4, first 2 shown]
	v_fmac_f32_e32 v102, 0xbf3504f3, v60
	v_fmac_f32_e32 v103, 0xbf3504f3, v27
	;; [unrolled: 1-line block ×3, first 2 shown]
	v_sub_f32_e32 v99, v64, v124
	v_fma_f32 v101, v119, 2.0, -v65
	v_sub_f32_e32 v24, v44, v24
	v_fma_f32 v45, v45, 2.0, -v11
	;; [unrolled: 2-line block ×4, first 2 shown]
	v_sub_f32_e32 v58, v36, v58
	v_sub_f32_e32 v46, v15, v46
	v_fmac_f32_e32 v102, 0x3f3504f3, v27
	v_fmac_f32_e32 v103, 0xbf3504f3, v60
	v_mov_b32_e32 v60, v37
	v_fma_f32 v64, v64, 2.0, -v99
	v_fma_f32 v44, v44, 2.0, -v24
	;; [unrolled: 1-line block ×4, first 2 shown]
	v_sub_f32_e32 v38, v21, v38
	v_sub_f32_e32 v50, v29, v50
	;; [unrolled: 1-line block ×4, first 2 shown]
	v_fma_f32 v27, v34, 2.0, -v102
	v_fma_f32 v34, v35, 2.0, -v103
	v_add_f32_e32 v35, v58, v46
	v_fmac_f32_e32 v60, 0x3f3504f3, v23
	v_fma_f32 v36, v36, 2.0, -v58
	v_fma_f32 v29, v29, 2.0, -v50
	;; [unrolled: 1-line block ×3, first 2 shown]
	v_sub_f32_e32 v44, v64, v44
	v_fma_f32 v101, v101, 2.0, -v45
	v_sub_f32_e32 v24, v65, v24
	v_sub_f32_e32 v53, v56, v53
	v_fma_f32 v39, v39, 2.0, -v54
	v_sub_f32_e32 v46, v38, v50
	v_fma_f32 v50, v58, 2.0, -v35
	v_mov_b32_e32 v58, v9
	v_fmac_f32_e32 v60, 0xbf3504f3, v13
	v_fma_f32 v64, v64, 2.0, -v44
	v_add_f32_e32 v11, v99, v11
	v_fma_f32 v65, v65, 2.0, -v24
	v_fma_f32 v56, v56, 2.0, -v53
	v_sub_f32_e32 v42, v7, v42
	v_fmac_f32_e32 v58, 0x3f3504f3, v13
	v_fma_f32 v13, v37, 2.0, -v60
	v_sub_f32_e32 v37, v101, v39
	v_fma_f32 v99, v99, 2.0, -v11
	v_add_f32_e32 v18, v41, v18
	v_fma_f32 v7, v7, 2.0, -v42
	v_fmac_f32_e32 v58, 0x3f3504f3, v23
	v_sub_f32_e32 v23, v64, v56
	v_fma_f32 v56, v101, 2.0, -v37
	v_mov_b32_e32 v101, v65
	v_fma_f32 v41, v41, 2.0, -v18
	v_fma_f32 v39, v64, 2.0, -v23
	v_mov_b32_e32 v64, v99
	v_fmac_f32_e32 v101, 0xbf3504f3, v7
	v_fma_f32 v21, v21, 2.0, -v38
	v_fmac_f32_e32 v64, 0xbf3504f3, v41
	v_fmac_f32_e32 v101, 0xbf3504f3, v41
	v_sub_f32_e32 v15, v21, v15
	v_fmac_f32_e32 v64, 0x3f3504f3, v7
	v_fma_f32 v41, v65, 2.0, -v101
	v_mov_b32_e32 v65, v11
	v_fma_f32 v21, v21, 2.0, -v15
	v_fma_f32 v7, v99, 2.0, -v64
	v_fmac_f32_e32 v65, 0x3f3504f3, v18
	v_mov_b32_e32 v99, v24
	v_fmac_f32_e32 v99, 0x3f3504f3, v42
	v_fmac_f32_e32 v65, 0x3f3504f3, v42
	v_sub_f32_e32 v42, v21, v56
	v_fma_f32 v56, v21, 2.0, -v42
	v_mov_b32_e32 v21, v27
	v_fmac_f32_e32 v21, 0xbf6c835e, v7
	v_mov_b32_e32 v104, v34
	v_fma_f32 v38, v38, 2.0, -v46
	v_add_f32_e32 v54, v44, v54
	v_sub_f32_e32 v53, v45, v53
	v_fmac_f32_e32 v104, 0xbf6c835e, v41
	v_fmac_f32_e32 v21, 0x3ec3ef15, v41
	v_fma_f32 v44, v44, 2.0, -v54
	v_fma_f32 v45, v45, 2.0, -v53
	v_fmac_f32_e32 v104, 0xbec3ef15, v7
	v_fma_f32 v7, v27, 2.0, -v21
	v_mov_b32_e32 v27, v50
	v_mov_b32_e32 v105, v38
	v_sub_f32_e32 v106, v15, v23
	v_fmac_f32_e32 v99, 0xbf3504f3, v18
	v_fmac_f32_e32 v27, 0xbf3504f3, v44
	;; [unrolled: 1-line block ×3, first 2 shown]
	v_fma_f32 v107, v15, 2.0, -v106
	v_mov_b32_e32 v15, v102
	v_fma_f32 v9, v9, 2.0, -v58
	v_fma_f32 v18, v24, 2.0, -v99
	v_fmac_f32_e32 v27, 0x3f3504f3, v45
	v_fmac_f32_e32 v105, 0xbf3504f3, v44
	v_mov_b32_e32 v45, v13
	v_fmac_f32_e32 v15, 0x3ec3ef15, v64
	v_mov_b32_e32 v108, v103
	v_mov_b32_e32 v23, v35
	v_sub_f32_e32 v29, v36, v29
	v_fma_f32 v11, v11, 2.0, -v65
	v_fma_f32 v44, v38, 2.0, -v105
	v_mov_b32_e32 v38, v9
	v_fmac_f32_e32 v45, 0xbec3ef15, v18
	v_fmac_f32_e32 v108, 0x3ec3ef15, v101
	;; [unrolled: 1-line block ×4, first 2 shown]
	v_mov_b32_e32 v101, v46
	v_fmac_f32_e32 v38, 0xbec3ef15, v11
	v_fmac_f32_e32 v45, 0xbf6c835e, v11
	v_add_f32_e32 v11, v29, v37
	v_fmac_f32_e32 v101, 0x3f3504f3, v53
	v_fmac_f32_e32 v23, 0x3f3504f3, v53
	v_mov_b32_e32 v53, v60
	v_fma_f32 v36, v36, 2.0, -v29
	v_fma_f32 v41, v34, 2.0, -v104
	;; [unrolled: 1-line block ×6, first 2 shown]
	v_mov_b32_e32 v35, v58
	v_fmac_f32_e32 v53, 0x3f6c835e, v99
	v_sub_f32_e32 v24, v36, v39
	v_fmac_f32_e32 v35, 0x3f6c835e, v65
	v_fmac_f32_e32 v53, 0xbec3ef15, v65
	v_sub_f32_e32 v39, v120, v63
	v_sub_f32_e32 v20, v61, v20
	;; [unrolled: 1-line block ×4, first 2 shown]
	v_fmac_f32_e32 v101, 0xbf3504f3, v54
	v_fmac_f32_e32 v35, 0x3ec3ef15, v99
	v_fma_f32 v54, v60, 2.0, -v53
	v_fma_f32 v60, v61, 2.0, -v20
	v_fma_f32 v48, v48, 2.0, -v30
	v_fma_f32 v43, v43, 2.0, -v10
	v_sub_f32_e32 v61, v100, v66
	v_sub_f32_e32 v28, v16, v28
	;; [unrolled: 1-line block ×4, first 2 shown]
	v_add_f32_e32 v10, v39, v10
	v_sub_f32_e32 v30, v20, v30
	v_fma_f32 v37, v58, 2.0, -v35
	v_fma_f32 v58, v120, 2.0, -v39
	;; [unrolled: 1-line block ×6, first 2 shown]
	v_add_f32_e32 v14, v61, v14
	v_sub_f32_e32 v32, v28, v32
	v_fmac_f32_e32 v38, 0x3f6c835e, v18
	v_fma_f32 v18, v102, 2.0, -v15
	v_fma_f32 v63, v100, 2.0, -v61
	;; [unrolled: 1-line block ×5, first 2 shown]
	v_mov_b32_e32 v100, v39
	v_mov_b32_e32 v102, v20
	v_sub_f32_e32 v65, v25, v125
	v_sub_f32_e32 v26, v22, v26
	;; [unrolled: 1-line block ×8, first 2 shown]
	v_fmac_f32_e32 v100, 0xbf3504f3, v61
	v_fmac_f32_e32 v102, 0xbf3504f3, v28
	v_fma_f32 v25, v25, 2.0, -v65
	v_fma_f32 v22, v22, 2.0, -v26
	;; [unrolled: 1-line block ×8, first 2 shown]
	v_sub_f32_e32 v48, v58, v48
	v_sub_f32_e32 v43, v60, v43
	;; [unrolled: 1-line block ×4, first 2 shown]
	v_fmac_f32_e32 v100, 0x3f3504f3, v28
	v_fmac_f32_e32 v102, 0xbf3504f3, v61
	v_mov_b32_e32 v61, v30
	v_fma_f32 v63, v63, 2.0, -v57
	v_fma_f32 v16, v16, 2.0, -v52
	v_sub_f32_e32 v66, v25, v66
	v_sub_f32_e32 v51, v22, v51
	;; [unrolled: 1-line block ×5, first 2 shown]
	v_fma_f32 v28, v39, 2.0, -v100
	v_add_f32_e32 v39, v48, v52
	v_sub_f32_e32 v52, v43, v57
	v_mov_b32_e32 v57, v10
	v_fmac_f32_e32 v61, 0x3f3504f3, v32
	v_fma_f32 v58, v58, 2.0, -v48
	v_fma_f32 v60, v60, 2.0, -v43
	;; [unrolled: 1-line block ×4, first 2 shown]
	v_add_f32_e32 v12, v65, v12
	v_fma_f32 v26, v26, 2.0, -v31
	v_fma_f32 v99, v99, 2.0, -v59
	;; [unrolled: 1-line block ×3, first 2 shown]
	v_sub_f32_e32 v33, v8, v33
	v_fmac_f32_e32 v57, 0x3f3504f3, v14
	v_fmac_f32_e32 v61, 0xbf3504f3, v14
	v_fma_f32 v65, v65, 2.0, -v12
	v_add_f32_e32 v19, v62, v19
	v_fma_f32 v8, v8, 2.0, -v33
	v_sub_f32_e32 v63, v58, v63
	v_sub_f32_e32 v16, v60, v16
	v_fmac_f32_e32 v57, 0x3f3504f3, v32
	v_fma_f32 v14, v30, 2.0, -v61
	v_sub_f32_e32 v30, v25, v99
	v_sub_f32_e32 v32, v22, v40
	v_mov_b32_e32 v99, v26
	v_fmac_f32_e32 v108, 0xbf6c835e, v64
	v_fma_f32 v62, v62, 2.0, -v19
	v_fma_f32 v58, v58, 2.0, -v63
	;; [unrolled: 1-line block ×5, first 2 shown]
	v_mov_b32_e32 v40, v65
	v_fmac_f32_e32 v99, 0xbf3504f3, v8
	v_fma_f32 v64, v103, 2.0, -v108
	v_fma_f32 v20, v20, 2.0, -v102
	v_fmac_f32_e32 v40, 0xbf3504f3, v62
	v_fmac_f32_e32 v99, 0xbf3504f3, v62
	v_add_f32_e32 v55, v66, v55
	v_sub_f32_e32 v25, v58, v25
	v_sub_f32_e32 v103, v60, v22
	v_fmac_f32_e32 v40, 0x3f3504f3, v8
	v_fma_f32 v26, v26, 2.0, -v99
	v_fma_f32 v62, v66, 2.0, -v55
	v_mov_b32_e32 v66, v31
	v_fma_f32 v22, v58, 2.0, -v25
	v_fma_f32 v58, v60, 2.0, -v103
	v_mov_b32_e32 v60, v20
	v_fma_f32 v8, v65, 2.0, -v40
	v_fmac_f32_e32 v66, 0x3f3504f3, v33
	v_fmac_f32_e32 v60, 0xbf6c835e, v26
	v_fma_f32 v48, v48, 2.0, -v39
	v_mov_b32_e32 v65, v12
	v_fmac_f32_e32 v66, 0xbf3504f3, v19
	v_fmac_f32_e32 v60, 0xbec3ef15, v8
	v_sub_f32_e32 v59, v51, v59
	v_fmac_f32_e32 v65, 0x3f3504f3, v19
	v_fma_f32 v19, v31, 2.0, -v66
	v_mov_b32_e32 v31, v28
	v_fma_f32 v109, v20, 2.0, -v60
	v_mov_b32_e32 v20, v48
	v_fma_f32 v51, v51, 2.0, -v59
	v_fmac_f32_e32 v31, 0xbf6c835e, v8
	v_fmac_f32_e32 v20, 0xbf3504f3, v62
	v_fma_f32 v10, v10, 2.0, -v57
	v_fmac_f32_e32 v65, 0x3f3504f3, v33
	v_fmac_f32_e32 v31, 0x3ec3ef15, v26
	;; [unrolled: 1-line block ×3, first 2 shown]
	v_fma_f32 v12, v12, 2.0, -v65
	v_fma_f32 v8, v28, 2.0, -v31
	;; [unrolled: 1-line block ×3, first 2 shown]
	v_mov_b32_e32 v28, v10
	v_mov_b32_e32 v48, v14
	v_fma_f32 v43, v43, 2.0, -v52
	v_fmac_f32_e32 v28, 0xbec3ef15, v12
	v_fmac_f32_e32 v48, 0xbec3ef15, v19
	v_mov_b32_e32 v110, v43
	v_fmac_f32_e32 v28, 0x3f6c835e, v19
	v_fmac_f32_e32 v48, 0xbf6c835e, v12
	v_add_f32_e32 v12, v63, v32
	v_mov_b32_e32 v19, v100
	v_fmac_f32_e32 v110, 0xbf3504f3, v51
	v_fma_f32 v51, v14, 2.0, -v48
	v_fma_f32 v14, v63, 2.0, -v12
	v_fmac_f32_e32 v19, 0x3ec3ef15, v40
	v_mov_b32_e32 v63, v102
	v_fmac_f32_e32 v63, 0x3ec3ef15, v99
	v_fmac_f32_e32 v19, 0x3f6c835e, v99
	v_mov_b32_e32 v99, v52
	v_mov_b32_e32 v32, v39
	v_fmac_f32_e32 v99, 0x3f3504f3, v59
	v_fmac_f32_e32 v32, 0x3f3504f3, v55
	;; [unrolled: 1-line block ×3, first 2 shown]
	v_mov_b32_e32 v55, v61
	v_fmac_f32_e32 v55, 0x3f6c835e, v66
	v_fmac_f32_e32 v55, 0xbec3ef15, v65
	;; [unrolled: 1-line block ×3, first 2 shown]
	v_fma_f32 v59, v61, 2.0, -v55
	v_lshlrev_b32_e32 v61, 4, v0
	v_and_or_b32 v61, v61, s0, v6
	v_fma_f32 v36, v36, 2.0, -v24
	v_lshl_add_u32 v61, v61, 2, v5
	v_fma_f32 v9, v9, 2.0, -v38
	v_fma_f32 v33, v39, 2.0, -v32
	v_mov_b32_e32 v39, v57
	s_barrier
	ds_write2_b32 v61, v36, v7 offset1:8
	ds_write2_b32 v61, v34, v9 offset0:16 offset1:24
	ds_write2_b32 v61, v13, v18 offset0:32 offset1:40
	;; [unrolled: 1-line block ×7, first 2 shown]
	v_lshlrev_b32_e32 v7, 4, v68
	s_movk_i32 s0, 0xf80
	v_fmac_f32_e32 v39, 0x3f6c835e, v65
	v_and_or_b32 v6, v7, s0, v6
	v_fmac_f32_e32 v110, 0xbf3504f3, v62
	v_fma_f32 v10, v10, 2.0, -v28
	v_sub_f32_e32 v62, v16, v30
	v_fmac_f32_e32 v63, 0xbf6c835e, v40
	v_fma_f32 v30, v100, 2.0, -v19
	v_fmac_f32_e32 v39, 0x3ec3ef15, v66
	v_lshl_add_u32 v6, v6, 2, v5
	v_fma_f32 v46, v46, 2.0, -v101
	v_fma_f32 v43, v43, 2.0, -v110
	;; [unrolled: 1-line block ×6, first 2 shown]
	ds_write2_b32 v6, v22, v8 offset1:8
	ds_write2_b32 v6, v26, v10 offset0:16 offset1:24
	ds_write2_b32 v6, v14, v30 offset0:32 offset1:40
	;; [unrolled: 1-line block ×7, first 2 shown]
	s_waitcnt lgkmcnt(0)
	s_barrier
	ds_read_b32 v66, v47
	ds_read2st64_b32 v[10:11], v49 offset0:16 offset1:18
	ds_read2st64_b32 v[12:13], v49 offset0:32 offset1:34
	;; [unrolled: 1-line block ×3, first 2 shown]
	ds_read_b32 v111, v4
	ds_read_b32 v112, v3
	;; [unrolled: 1-line block ×3, first 2 shown]
	ds_read2st64_b32 v[18:19], v49 offset0:20 offset1:22
	ds_read2st64_b32 v[20:21], v49 offset0:36 offset1:38
	;; [unrolled: 1-line block ×11, first 2 shown]
	s_waitcnt lgkmcnt(0)
	s_barrier
	ds_write2_b32 v61, v56, v41 offset1:8
	ds_write2_b32 v61, v44, v50 offset0:16 offset1:24
	ds_write2_b32 v61, v107, v64 offset0:32 offset1:40
	;; [unrolled: 1-line block ×7, first 2 shown]
	ds_write2_b32 v6, v58, v109 offset1:8
	ds_write2_b32 v6, v43, v51 offset0:16 offset1:24
	ds_write2_b32 v6, v16, v40 offset0:32 offset1:40
	;; [unrolled: 1-line block ×7, first 2 shown]
	v_mul_u32_u24_e32 v6, 3, v67
	v_lshlrev_b32_e32 v16, 3, v6
	s_waitcnt lgkmcnt(0)
	s_barrier
	global_load_dwordx4 v[6:9], v16, s[12:13] offset:960
	global_load_dwordx2 v[40:41], v16, s[12:13] offset:976
	ds_read_b32 v16, v47
	ds_read2st64_b32 v[42:43], v49 offset0:16 offset1:18
	ds_read2st64_b32 v[44:45], v49 offset0:32 offset1:34
	;; [unrolled: 1-line block ×3, first 2 shown]
	ds_read_b32 v46, v4
	ds_read_b32 v48, v3
	;; [unrolled: 1-line block ×3, first 2 shown]
	ds_read2st64_b32 v[52:53], v49 offset0:20 offset1:22
	ds_read2st64_b32 v[54:55], v49 offset0:36 offset1:38
	;; [unrolled: 1-line block ×11, first 2 shown]
	s_waitcnt vmcnt(0) lgkmcnt(0)
	s_barrier
	v_mul_f32_e32 v108, v42, v7
	v_fmac_f32_e32 v108, v10, v6
	v_mul_f32_e32 v10, v10, v7
	v_fma_f32 v10, v42, v6, -v10
	v_mul_f32_e32 v42, v44, v9
	v_fmac_f32_e32 v42, v12, v8
	v_mul_f32_e32 v12, v12, v9
	v_fma_f32 v12, v44, v8, -v12
	;; [unrolled: 4-line block ×21, first 2 shown]
	v_mul_f32_e32 v105, v102, v7
	v_mul_f32_e32 v7, v35, v7
	v_fmac_f32_e32 v105, v35, v6
	v_fma_f32 v6, v102, v6, -v7
	v_mul_f32_e32 v7, v104, v9
	v_mul_f32_e32 v9, v37, v9
	v_fmac_f32_e32 v7, v37, v8
	v_fma_f32 v8, v104, v8, -v9
	v_mul_f32_e32 v9, v106, v41
	v_mul_f32_e32 v35, v39, v41
	v_fmac_f32_e32 v9, v39, v40
	v_fma_f32 v35, v106, v40, -v35
	v_sub_f32_e32 v40, v108, v44
	v_sub_f32_e32 v44, v50, v45
	;; [unrolled: 1-line block ×6, first 2 shown]
	v_fma_f32 v45, v50, 2.0, -v44
	v_sub_f32_e32 v20, v107, v20
	v_sub_f32_e32 v50, v51, v54
	;; [unrolled: 1-line block ×3, first 2 shown]
	v_fma_f32 v39, v66, 2.0, -v37
	v_fma_f32 v41, v108, 2.0, -v40
	v_sub_f32_e32 v66, v12, v40
	v_sub_f32_e32 v40, v112, v43
	v_fma_f32 v43, v48, 2.0, -v13
	v_fma_f32 v11, v11, 2.0, -v15
	;; [unrolled: 1-line block ×4, first 2 shown]
	v_sub_f32_e32 v54, v20, v50
	v_sub_f32_e32 v11, v43, v11
	v_fma_f32 v51, v51, 2.0, -v50
	v_sub_f32_e32 v18, v48, v18
	v_fma_f32 v106, v20, 2.0, -v54
	v_sub_f32_e32 v20, v111, v53
	v_sub_f32_e32 v21, v46, v21
	;; [unrolled: 1-line block ×4, first 2 shown]
	v_fma_f32 v102, v43, 2.0, -v11
	v_sub_f32_e32 v43, v113, v52
	v_fma_f32 v52, v48, 2.0, -v18
	v_fma_f32 v48, v111, 2.0, -v20
	;; [unrolled: 1-line block ×5, first 2 shown]
	v_sub_f32_e32 v53, v48, v53
	v_sub_f32_e32 v55, v46, v19
	;; [unrolled: 1-line block ×4, first 2 shown]
	v_fma_f32 v19, v48, 2.0, -v53
	v_fma_f32 v56, v46, 2.0, -v55
	v_sub_f32_e32 v107, v21, v50
	v_fma_f32 v46, v58, 2.0, -v28
	v_sub_f32_e32 v48, v57, v62
	v_fma_f32 v26, v26, 2.0, -v30
	v_fma_f32 v108, v21, 2.0, -v107
	v_sub_f32_e32 v21, v24, v60
	v_fma_f32 v50, v57, 2.0, -v48
	v_sub_f32_e32 v57, v46, v26
	v_sub_f32_e32 v29, v59, v29
	;; [unrolled: 1-line block ×3, first 2 shown]
	v_fma_f32 v58, v46, 2.0, -v57
	v_add_f32_e32 v26, v21, v30
	v_fma_f32 v30, v59, 2.0, -v29
	v_sub_f32_e32 v46, v64, v63
	v_fma_f32 v27, v27, 2.0, -v31
	v_sub_f32_e32 v60, v28, v48
	v_sub_f32_e32 v59, v30, v27
	;; [unrolled: 1-line block ×3, first 2 shown]
	v_fma_f32 v62, v28, 2.0, -v60
	v_sub_f32_e32 v28, v25, v61
	v_fma_f32 v48, v64, 2.0, -v46
	v_fma_f32 v61, v30, 2.0, -v59
	v_fma_f32 v64, v29, 2.0, -v63
	v_sub_f32_e32 v29, v32, v101
	v_sub_f32_e32 v30, v99, v36
	;; [unrolled: 1-line block ×3, first 2 shown]
	v_add_f32_e32 v27, v28, v31
	v_fma_f32 v31, v32, 2.0, -v29
	v_fma_f32 v32, v99, 2.0, -v30
	v_sub_f32_e32 v36, v65, v103
	v_fma_f32 v34, v34, 2.0, -v38
	v_sub_f32_e32 v14, v10, v14
	v_sub_f32_e32 v41, v39, v41
	v_fma_f32 v42, v112, 2.0, -v40
	v_fma_f32 v46, v65, 2.0, -v36
	v_sub_f32_e32 v65, v32, v34
	v_sub_f32_e32 v101, v30, v36
	;; [unrolled: 1-line block ×5, first 2 shown]
	v_fma_f32 v10, v10, 2.0, -v14
	v_fma_f32 v39, v39, 2.0, -v41
	v_add_f32_e32 v14, v37, v14
	v_sub_f32_e32 v45, v42, v45
	v_add_f32_e32 v15, v40, v15
	v_sub_f32_e32 v104, v13, v44
	v_fma_f32 v44, v113, 2.0, -v43
	v_fma_f32 v103, v30, 2.0, -v101
	;; [unrolled: 1-line block ×4, first 2 shown]
	v_sub_f32_e32 v9, v105, v9
	v_fma_f32 v6, v6, 2.0, -v34
	v_fma_f32 v37, v37, 2.0, -v14
	;; [unrolled: 1-line block ×4, first 2 shown]
	v_sub_f32_e32 v51, v44, v51
	v_add_f32_e32 v22, v43, v22
	v_add_f32_e32 v23, v20, v23
	v_fma_f32 v24, v24, 2.0, -v21
	v_fma_f32 v25, v25, 2.0, -v28
	;; [unrolled: 1-line block ×3, first 2 shown]
	v_sub_f32_e32 v6, v33, v6
	ds_write_b32 v49, v39
	ds_write_b32 v3, v37
	;; [unrolled: 1-line block ×4, first 2 shown]
	v_lshl_add_u32 v14, v70, 2, v5
	v_lshl_add_u32 v70, v77, 2, v5
	;; [unrolled: 1-line block ×4, first 2 shown]
	v_fma_f32 v44, v44, 2.0, -v51
	v_fma_f32 v43, v43, 2.0, -v22
	;; [unrolled: 1-line block ×3, first 2 shown]
	v_sub_f32_e32 v50, v24, v50
	v_sub_f32_e32 v48, v25, v48
	;; [unrolled: 1-line block ×3, first 2 shown]
	v_fma_f32 v99, v32, 2.0, -v65
	v_add_f32_e32 v32, v29, v38
	v_sub_f32_e32 v35, v30, v35
	v_fma_f32 v100, v33, 2.0, -v6
	v_add_f32_e32 v33, v7, v34
	ds_write_b32 v14, v42
	ds_write_b32 v70, v40
	;; [unrolled: 1-line block ×4, first 2 shown]
	v_lshl_add_u32 v15, v71, 2, v5
	v_lshl_add_u32 v71, v78, 2, v5
	;; [unrolled: 1-line block ×4, first 2 shown]
	v_fma_f32 v24, v24, 2.0, -v50
	v_fma_f32 v21, v21, 2.0, -v26
	;; [unrolled: 1-line block ×8, first 2 shown]
	ds_write_b32 v15, v44
	ds_write_b32 v71, v43
	;; [unrolled: 1-line block ×7, first 2 shown]
	v_lshl_add_u32 v53, v94, 2, v5
	v_lshl_add_u32 v92, v95, 2, v5
	;; [unrolled: 1-line block ×4, first 2 shown]
	ds_write_b32 v53, v23
	ds_write_b32 v73, v24
	;; [unrolled: 1-line block ×15, first 2 shown]
	v_lshl_add_u32 v7, v91, 2, v5
	v_lshl_add_u32 v91, v98, 2, v5
	ds_write_b32 v7, v35
	ds_write_b32 v91, v33
	s_waitcnt lgkmcnt(0)
	s_barrier
	ds_read_b32 v50, v47
	ds_read2st64_b32 v[25:26], v49 offset0:8 offset1:10
	ds_read2st64_b32 v[21:22], v49 offset0:16 offset1:18
	;; [unrolled: 1-line block ×7, first 2 shown]
	ds_read_b32 v5, v4
	ds_read_b32 v51, v3
	;; [unrolled: 1-line block ×3, first 2 shown]
	ds_read2st64_b32 v[39:40], v49 offset0:12 offset1:14
	ds_read2st64_b32 v[35:36], v49 offset0:20 offset1:22
	;; [unrolled: 1-line block ×7, first 2 shown]
	v_fma_f32 v16, v16, 2.0, -v12
	v_sub_f32_e32 v10, v16, v10
	v_fma_f32 v16, v16, 2.0, -v10
	v_sub_f32_e32 v9, v8, v9
	v_fma_f32 v12, v12, 2.0, -v66
	v_fma_f32 v13, v13, 2.0, -v104
	;; [unrolled: 1-line block ×3, first 2 shown]
	s_waitcnt lgkmcnt(0)
	s_barrier
	ds_write_b32 v49, v16
	ds_write_b32 v3, v12
	;; [unrolled: 1-line block ×32, first 2 shown]
	s_waitcnt lgkmcnt(0)
	s_barrier
	s_and_saveexec_b64 s[0:1], vcc
	s_cbranch_execz .LBB0_6
; %bb.5:
	v_mul_i32_i24_e32 v64, 7, v85
	v_mov_b32_e32 v65, 0
	v_lshlrev_b64 v[6:7], 3, v[64:65]
	v_mov_b32_e32 v66, s13
	v_add_co_u32_e32 v14, vcc, s12, v6
	v_addc_co_u32_e32 v15, vcc, v66, v7, vcc
	global_load_dwordx4 v[6:9], v[14:15], off offset:4048
	global_load_dwordx4 v[10:13], v[14:15], off offset:4032
	;; [unrolled: 1-line block ×3, first 2 shown]
	global_load_dwordx2 v[73:74], v[14:15], off offset:4080
	v_mul_i32_i24_e32 v64, 7, v69
	ds_read2st64_b32 v[81:82], v49 offset0:36 offset1:38
	ds_read2st64_b32 v[83:84], v49 offset0:20 offset1:22
	;; [unrolled: 1-line block ×7, first 2 shown]
	ds_read_b32 v14, v4
	ds_read_b32 v97, v3
	v_lshlrev_b64 v[3:4], 3, v[64:65]
	v_add_co_u32_e32 v3, vcc, s12, v3
	v_addc_co_u32_e32 v4, vcc, v66, v4, vcc
	global_load_dwordx2 v[95:96], v[3:4], off offset:4080
	global_load_dwordx4 v[56:59], v[3:4], off offset:4064
	global_load_dwordx4 v[60:63], v[3:4], off offset:4048
	;; [unrolled: 1-line block ×3, first 2 shown]
	ds_read_b32 v98, v47
	s_waitcnt vmcnt(7)
	v_mul_f32_e32 v3, v34, v9
	s_waitcnt vmcnt(6) lgkmcnt(8)
	v_mul_f32_e32 v4, v13, v84
	s_waitcnt vmcnt(5) lgkmcnt(7)
	v_mul_f32_e32 v15, v55, v86
	v_mul_f32_e32 v16, v40, v11
	;; [unrolled: 1-line block ×3, first 2 shown]
	s_waitcnt lgkmcnt(4)
	v_mul_f32_e32 v64, v7, v92
	s_waitcnt vmcnt(4) lgkmcnt(3)
	v_mul_f32_e32 v75, v74, v94
	v_mul_f32_e32 v7, v44, v7
	;; [unrolled: 1-line block ×8, first 2 shown]
	v_fma_f32 v3, v8, v82, -v3
	v_fmac_f32_e32 v4, v36, v12
	v_fmac_f32_e32 v15, v38, v54
	v_fma_f32 v16, v10, v88, -v16
	v_fma_f32 v18, v52, v90, -v18
	v_fmac_f32_e32 v64, v44, v6
	v_fma_f32 v6, v6, v92, -v7
	v_fma_f32 v7, v73, v94, -v74
	v_fmac_f32_e32 v11, v40, v10
	v_fmac_f32_e32 v53, v42, v52
	v_fma_f32 v10, v12, v84, -v13
	v_fma_f32 v12, v54, v86, -v55
	v_fmac_f32_e32 v9, v34, v8
	v_fmac_f32_e32 v75, v46, v73
	s_waitcnt lgkmcnt(2)
	v_sub_f32_e32 v8, v14, v3
	v_sub_f32_e32 v3, v4, v15
	;; [unrolled: 1-line block ×9, first 2 shown]
	v_add_f32_e32 v40, v18, v7
	v_add_f32_e32 v42, v34, v12
	v_fma_f32 v9, v10, 2.0, -v12
	v_fma_f32 v12, v16, 2.0, -v15
	;; [unrolled: 1-line block ×3, first 2 shown]
	v_sub_f32_e32 v38, v15, v13
	v_sub_f32_e32 v55, v12, v7
	v_fma_f32 v7, v8, 2.0, -v36
	v_fma_f32 v44, v14, 2.0, -v8
	;; [unrolled: 1-line block ×3, first 2 shown]
	v_mov_b32_e32 v8, v7
	v_fma_f32 v11, v11, 2.0, -v18
	v_fmac_f32_e32 v8, 0xbf3504f3, v15
	v_fma_f32 v18, v18, 2.0, -v40
	v_fma_f32 v46, v5, 2.0, -v34
	v_fmac_f32_e32 v8, 0xbf3504f3, v18
	v_fma_f32 v34, v34, 2.0, -v42
	v_fma_f32 v5, v4, 2.0, -v3
	v_mov_b32_e32 v4, v36
	v_fma_f32 v16, v7, 2.0, -v8
	v_mov_b32_e32 v7, v34
	v_fmac_f32_e32 v4, 0x3f3504f3, v38
	v_fmac_f32_e32 v7, 0xbf3504f3, v18
	v_fma_f32 v10, v64, 2.0, -v13
	v_sub_f32_e32 v54, v46, v5
	v_fmac_f32_e32 v4, 0xbf3504f3, v40
	v_fmac_f32_e32 v7, 0x3f3504f3, v15
	v_mul_i32_i24_e32 v64, 7, v68
	v_sub_f32_e32 v53, v11, v10
	v_fma_f32 v10, v36, 2.0, -v4
	v_fma_f32 v15, v34, 2.0, -v7
	;; [unrolled: 1-line block ×3, first 2 shown]
	ds_read_b32 v36, v17
	v_lshlrev_b64 v[46:47], 3, v[64:65]
	v_sub_f32_e32 v52, v44, v9
	v_add_co_u32_e32 v46, vcc, s12, v46
	v_sub_f32_e32 v6, v52, v53
	v_add_f32_e32 v5, v54, v55
	v_addc_co_u32_e32 v47, vcc, v66, v47, vcc
	v_fma_f32 v14, v52, 2.0, -v6
	v_fma_f32 v13, v54, 2.0, -v5
	v_fma_f32 v18, v44, 2.0, -v52
	v_fma_f32 v12, v12, 2.0, -v55
	v_fma_f32 v11, v11, 2.0, -v53
	global_load_dwordx4 v[52:55], v[46:47], off offset:4048
	global_load_dwordx4 v[73:76], v[46:47], off offset:4032
	global_load_dwordx2 v[64:65], v[46:47], off offset:4080
	global_load_dwordx4 v[77:80], v[46:47], off offset:4064
	v_mov_b32_e32 v3, v42
	v_sub_f32_e32 v11, v34, v11
	v_fmac_f32_e32 v3, 0x3f3504f3, v40
	v_fma_f32 v17, v34, 2.0, -v11
	s_waitcnt vmcnt(5)
	v_mul_f32_e32 v34, v33, v63
	v_fmac_f32_e32 v3, 0x3f3504f3, v38
	v_fma_f32 v34, v62, v81, -v34
	v_fma_f32 v9, v42, 2.0, -v3
	s_waitcnt lgkmcnt(0)
	v_sub_f32_e32 v38, v36, v34
	s_waitcnt vmcnt(4)
	v_mul_f32_e32 v42, v72, v83
	v_mul_f32_e32 v34, v59, v85
	v_fmac_f32_e32 v42, v35, v71
	v_fmac_f32_e32 v34, v37, v58
	v_sub_f32_e32 v82, v42, v34
	v_mul_f32_e32 v34, v39, v70
	v_mul_f32_e32 v44, v61, v91
	;; [unrolled: 1-line block ×3, first 2 shown]
	v_fma_f32 v66, v69, v87, -v34
	v_mul_f32_e32 v34, v41, v57
	v_fmac_f32_e32 v44, v43, v60
	v_fma_f32 v43, v60, v91, -v40
	v_mul_f32_e32 v60, v87, v70
	v_fma_f32 v34, v56, v89, -v34
	v_fmac_f32_e32 v60, v39, v69
	v_mul_f32_e32 v39, v89, v57
	v_mul_f32_e32 v35, v35, v72
	;; [unrolled: 1-line block ×3, first 2 shown]
	v_sub_f32_e32 v46, v66, v34
	v_mul_f32_e32 v34, v96, v93
	v_fmac_f32_e32 v39, v41, v56
	v_fma_f32 v35, v71, v83, -v35
	v_fma_f32 v37, v58, v85, -v37
	v_fmac_f32_e32 v34, v45, v95
	v_sub_f32_e32 v41, v60, v39
	v_sub_f32_e32 v37, v35, v37
	v_mul_f32_e32 v39, v81, v63
	v_sub_f32_e32 v47, v44, v34
	v_mul_f32_e32 v40, v45, v96
	v_fmac_f32_e32 v39, v33, v62
	v_fma_f32 v59, v36, 2.0, -v38
	v_fma_f32 v35, v35, 2.0, -v37
	v_sub_f32_e32 v84, v38, v82
	v_fma_f32 v40, v95, v93, -v40
	v_sub_f32_e32 v57, v48, v39
	v_sub_f32_e32 v61, v59, v35
	v_fma_f32 v60, v60, 2.0, -v41
	v_fma_f32 v35, v44, 2.0, -v47
	v_sub_f32_e32 v68, v46, v47
	v_sub_f32_e32 v45, v43, v40
	v_add_f32_e32 v58, v57, v37
	v_sub_f32_e32 v47, v60, v35
	v_fma_f32 v62, v48, 2.0, -v57
	v_fma_f32 v35, v42, 2.0, -v82
	;; [unrolled: 1-line block ×3, first 2 shown]
	v_mov_b32_e32 v34, v84
	v_add_f32_e32 v56, v41, v45
	v_sub_f32_e32 v63, v62, v35
	v_fma_f32 v35, v43, 2.0, -v45
	v_fma_f32 v45, v46, 2.0, -v68
	v_mov_b32_e32 v38, v37
	v_fmac_f32_e32 v34, 0x3f3504f3, v68
	v_mov_b32_e32 v33, v58
	v_fmac_f32_e32 v38, 0xbf3504f3, v45
	v_fma_f32 v41, v41, 2.0, -v56
	v_fmac_f32_e32 v34, 0xbf3504f3, v56
	v_fmac_f32_e32 v33, 0x3f3504f3, v56
	v_fma_f32 v42, v66, 2.0, -v46
	v_fmac_f32_e32 v38, 0xbf3504f3, v41
	v_fma_f32 v56, v57, 2.0, -v58
	v_sub_f32_e32 v48, v42, v35
	v_fma_f32 v46, v37, 2.0, -v38
	v_mov_b32_e32 v37, v56
	v_fmac_f32_e32 v37, 0xbf3504f3, v41
	v_fma_f32 v41, v59, 2.0, -v61
	v_fma_f32 v42, v42, 2.0, -v48
	ds_read2st64_b32 v[81:82], v49 offset0:32 offset1:34
	v_fma_f32 v40, v84, 2.0, -v34
	v_fmac_f32_e32 v37, 0x3f3504f3, v45
	v_sub_f32_e32 v42, v41, v42
	ds_read2st64_b32 v[83:84], v49 offset0:16 offset1:18
	ds_read2st64_b32 v[85:86], v49 offset0:48 offset1:50
	v_add_f32_e32 v35, v63, v48
	v_fma_f32 v45, v56, 2.0, -v37
	v_fma_f32 v48, v41, 2.0, -v42
	;; [unrolled: 1-line block ×4, first 2 shown]
	v_sub_f32_e32 v41, v56, v41
	v_sub_f32_e32 v36, v61, v47
	v_fma_f32 v47, v56, 2.0, -v41
	s_waitcnt vmcnt(3)
	v_mul_f32_e32 v56, v20, v55
	ds_read2st64_b32 v[87:88], v49 offset0:8 offset1:10
	s_waitcnt lgkmcnt(3)
	v_fma_f32 v56, v54, v82, -v56
	v_sub_f32_e32 v99, v97, v56
	s_waitcnt vmcnt(2) lgkmcnt(2)
	v_mul_f32_e32 v72, v76, v84
	s_waitcnt vmcnt(0) lgkmcnt(1)
	v_mul_f32_e32 v56, v80, v86
	v_fmac_f32_e32 v72, v22, v75
	v_fmac_f32_e32 v56, v24, v79
	v_sub_f32_e32 v100, v72, v56
	v_mul_f32_e32 v56, v26, v74
	s_waitcnt lgkmcnt(0)
	v_fma_f32 v102, v73, v88, -v56
	v_mul_u32_u24_e32 v56, 7, v67
	v_fmac_f32_e32 v33, 0x3f3504f3, v68
	v_lshlrev_b32_e32 v66, 3, v56
	v_fma_f32 v39, v58, 2.0, -v33
	global_load_dwordx4 v[56:59], v66, s[12:13] offset:4048
	v_fma_f32 v44, v61, 2.0, -v36
	v_fma_f32 v43, v63, 2.0, -v35
	ds_read2st64_b32 v[89:90], v49 offset0:40 offset1:42
	ds_read2st64_b32 v[91:92], v49 offset0:24 offset1:26
	global_load_dwordx4 v[60:63], v66, s[12:13] offset:4032
	global_load_dwordx2 v[93:94], v66, s[12:13] offset:4080
	global_load_dwordx4 v[68:71], v66, s[12:13] offset:4064
	ds_read2st64_b32 v[95:96], v49 offset0:56 offset1:58
	v_mul_f32_e32 v66, v28, v78
	s_waitcnt lgkmcnt(2)
	v_fma_f32 v49, v77, v90, -v66
	s_waitcnt lgkmcnt(1)
	v_mul_f32_e32 v103, v53, v92
	v_fmac_f32_e32 v103, v30, v52
	s_waitcnt lgkmcnt(0)
	v_mul_f32_e32 v66, v65, v96
	v_fmac_f32_e32 v66, v32, v64
	v_mul_f32_e32 v30, v30, v53
	v_mul_f32_e32 v32, v32, v65
	v_fma_f32 v30, v52, v92, -v30
	v_fma_f32 v32, v64, v96, -v32
	v_mul_f32_e32 v64, v88, v74
	v_mul_f32_e32 v22, v22, v76
	;; [unrolled: 1-line block ×4, first 2 shown]
	v_fmac_f32_e32 v64, v26, v73
	v_mul_f32_e32 v26, v90, v78
	v_fma_f32 v22, v75, v84, -v22
	v_fma_f32 v24, v79, v86, -v24
	v_fmac_f32_e32 v52, v20, v54
	v_fmac_f32_e32 v26, v28, v77
	v_sub_f32_e32 v24, v22, v24
	v_sub_f32_e32 v20, v51, v52
	;; [unrolled: 1-line block ×4, first 2 shown]
	v_add_f32_e32 v74, v20, v24
	v_sub_f32_e32 v49, v102, v49
	v_sub_f32_e32 v104, v103, v66
	v_add_f32_e32 v28, v26, v32
	v_mov_b32_e32 v65, v74
	v_sub_f32_e32 v105, v49, v104
	v_fmac_f32_e32 v65, 0x3f3504f3, v28
	v_fmac_f32_e32 v65, 0x3f3504f3, v105
	v_fma_f32 v51, v51, 2.0, -v20
	v_fma_f32 v20, v20, 2.0, -v74
	;; [unrolled: 1-line block ×8, first 2 shown]
	v_mov_b32_e32 v74, v20
	v_sub_f32_e32 v22, v78, v22
	v_sub_f32_e32 v64, v24, v54
	v_fma_f32 v79, v102, 2.0, -v49
	v_fma_f32 v30, v30, 2.0, -v32
	;; [unrolled: 1-line block ×3, first 2 shown]
	v_fmac_f32_e32 v74, 0xbf3504f3, v26
	v_sub_f32_e32 v55, v22, v64
	v_sub_f32_e32 v30, v79, v30
	v_fmac_f32_e32 v74, 0x3f3504f3, v49
	v_fma_f32 v73, v22, 2.0, -v55
	v_fma_f32 v54, v72, 2.0, -v100
	v_fma_f32 v76, v20, 2.0, -v74
	v_fma_f32 v20, v78, 2.0, -v22
	v_fma_f32 v22, v79, 2.0, -v30
	v_sub_f32_e32 v80, v51, v54
	v_sub_f32_e32 v79, v20, v22
	v_fma_f32 v97, v20, 2.0, -v79
	v_fma_f32 v20, v51, 2.0, -v80
	;; [unrolled: 1-line block ×3, first 2 shown]
	v_sub_f32_e32 v101, v99, v100
	v_sub_f32_e32 v78, v20, v22
	v_mov_b32_e32 v66, v101
	v_fma_f32 v32, v99, 2.0, -v101
	v_fma_f32 v96, v20, 2.0, -v78
	v_fmac_f32_e32 v66, 0x3f3504f3, v105
	v_mov_b32_e32 v75, v32
	v_fmac_f32_e32 v66, 0xbf3504f3, v28
	v_add_f32_e32 v54, v80, v30
	v_fmac_f32_e32 v75, 0xbf3504f3, v49
	v_fmac_f32_e32 v75, 0xbf3504f3, v26
	v_fma_f32 v77, v32, 2.0, -v75
	v_fma_f32 v72, v80, 2.0, -v54
	v_add_co_u32_e32 v1, vcc, s2, v1
	s_waitcnt vmcnt(3)
	v_mul_f32_e32 v20, v19, v59
	v_fma_f32 v20, v58, v81, -v20
	v_sub_f32_e32 v28, v98, v20
	s_waitcnt vmcnt(2)
	v_mul_f32_e32 v30, v63, v83
	s_waitcnt vmcnt(0)
	v_mul_f32_e32 v20, v71, v85
	v_fmac_f32_e32 v30, v21, v62
	v_fmac_f32_e32 v20, v23, v70
	v_mul_f32_e32 v24, v57, v91
	v_mul_f32_e32 v22, v29, v57
	v_sub_f32_e32 v32, v30, v20
	v_mul_f32_e32 v20, v25, v61
	v_fmac_f32_e32 v24, v29, v56
	v_fma_f32 v29, v56, v91, -v22
	v_mul_f32_e32 v56, v87, v61
	v_mul_f32_e32 v21, v21, v63
	v_fma_f32 v51, v60, v87, -v20
	v_mul_f32_e32 v20, v27, v69
	v_fmac_f32_e32 v56, v25, v60
	v_fma_f32 v25, v62, v83, -v21
	v_mul_f32_e32 v21, v23, v71
	v_fma_f32 v20, v68, v89, -v20
	v_mul_f32_e32 v22, v31, v94
	v_fma_f32 v21, v70, v85, -v21
	v_sub_f32_e32 v64, v51, v20
	v_mul_f32_e32 v20, v94, v95
	v_fma_f32 v22, v93, v95, -v22
	v_sub_f32_e32 v23, v25, v21
	v_mul_f32_e32 v21, v81, v59
	v_fmac_f32_e32 v20, v31, v93
	v_sub_f32_e32 v31, v29, v22
	v_mul_f32_e32 v22, v89, v69
	v_fmac_f32_e32 v21, v19, v58
	v_fmac_f32_e32 v22, v27, v68
	v_sub_f32_e32 v58, v50, v21
	v_sub_f32_e32 v49, v28, v32
	;; [unrolled: 1-line block ×4, first 2 shown]
	v_add_f32_e32 v59, v58, v23
	v_fma_f32 v60, v98, 2.0, -v28
	v_fma_f32 v23, v25, 2.0, -v23
	v_sub_f32_e32 v80, v64, v26
	v_mov_b32_e32 v20, v49
	v_sub_f32_e32 v61, v60, v23
	v_fma_f32 v56, v56, 2.0, -v27
	v_fma_f32 v23, v24, 2.0, -v26
	v_fmac_f32_e32 v20, 0x3f3504f3, v80
	v_add_f32_e32 v57, v27, v31
	v_sub_f32_e32 v62, v56, v23
	v_fma_f32 v63, v50, 2.0, -v58
	v_fma_f32 v23, v30, 2.0, -v32
	v_fmac_f32_e32 v20, 0xbf3504f3, v57
	v_sub_f32_e32 v68, v63, v23
	v_fma_f32 v23, v29, 2.0, -v31
	v_fma_f32 v29, v28, 2.0, -v49
	;; [unrolled: 1-line block ×4, first 2 shown]
	v_mov_b32_e32 v28, v29
	v_fmac_f32_e32 v28, 0xbf3504f3, v49
	v_fma_f32 v50, v27, 2.0, -v57
	v_fmac_f32_e32 v28, 0xbf3504f3, v50
	v_fma_f32 v32, v51, 2.0, -v64
	v_fma_f32 v30, v29, 2.0, -v28
	;; [unrolled: 1-line block ×3, first 2 shown]
	v_sub_f32_e32 v31, v32, v23
	v_mov_b32_e32 v27, v29
	v_add_f32_e32 v23, v68, v31
	v_fmac_f32_e32 v27, 0xbf3504f3, v50
	v_fma_f32 v50, v32, 2.0, -v31
	v_mad_u64_u32 v[31:32], s[0:1], s8, v67, 0
	v_mov_b32_e32 v19, v59
	v_fmac_f32_e32 v19, 0x3f3504f3, v57
	v_fmac_f32_e32 v19, 0x3f3504f3, v80
	v_fma_f32 v21, v59, 2.0, -v19
	v_mad_u64_u32 v[58:59], s[0:1], s9, v67, v[32:33]
	v_fmac_f32_e32 v27, 0x3f3504f3, v49
	v_fma_f32 v49, v60, 2.0, -v61
	v_sub_f32_e32 v50, v49, v50
	v_fma_f32 v51, v63, 2.0, -v68
	v_fma_f32 v32, v56, 2.0, -v62
	v_or_b32_e32 v60, 0x200, v67
	v_fma_f32 v57, v49, 2.0, -v50
	v_sub_f32_e32 v49, v51, v32
	v_mov_b32_e32 v32, v58
	v_mad_u64_u32 v[58:59], s[0:1], s8, v60, 0
	v_fma_f32 v56, v51, 2.0, -v49
	v_mov_b32_e32 v51, s3
	v_addc_co_u32_e32 v2, vcc, v51, v2, vcc
	v_mov_b32_e32 v51, v59
	v_lshlrev_b64 v[31:32], 3, v[31:32]
	v_mad_u64_u32 v[59:60], s[0:1], s9, v60, v[51:52]
	v_add_co_u32_e32 v31, vcc, v1, v31
	v_addc_co_u32_e32 v32, vcc, v2, v32, vcc
	global_store_dwordx2 v[31:32], v[56:57], off
	v_lshlrev_b64 v[31:32], 3, v[58:59]
	v_or_b32_e32 v58, 0x400, v67
	v_mad_u64_u32 v[56:57], s[0:1], s8, v58, 0
	v_add_co_u32_e32 v31, vcc, v1, v31
	v_mov_b32_e32 v51, v57
	v_mad_u64_u32 v[57:58], s[0:1], s9, v58, v[51:52]
	v_or_b32_e32 v51, 0x600, v67
	v_mad_u64_u32 v[58:59], s[0:1], s8, v51, 0
	v_fma_f32 v29, v29, 2.0, -v27
	v_addc_co_u32_e32 v32, vcc, v2, v32, vcc
	global_store_dwordx2 v[31:32], v[29:30], off
	v_mov_b32_e32 v31, v59
	v_mad_u64_u32 v[31:32], s[0:1], s9, v51, v[31:32]
	v_lshlrev_b64 v[29:30], 3, v[56:57]
	v_sub_f32_e32 v24, v61, v62
	v_add_co_u32_e32 v29, vcc, v1, v29
	v_fma_f32 v26, v61, 2.0, -v24
	v_fma_f32 v25, v68, 2.0, -v23
	v_addc_co_u32_e32 v30, vcc, v2, v30, vcc
	v_mov_b32_e32 v59, v31
	v_or_b32_e32 v31, 0x800, v67
	global_store_dwordx2 v[29:30], v[25:26], off
	v_mad_u64_u32 v[29:30], s[0:1], s8, v31, 0
	v_or_b32_e32 v51, 0xa00, v67
	v_lshlrev_b64 v[25:26], 3, v[58:59]
	v_mad_u64_u32 v[30:31], s[0:1], s9, v31, v[30:31]
	v_mad_u64_u32 v[31:32], s[0:1], s8, v51, 0
	v_add_co_u32_e32 v25, vcc, v1, v25
	v_addc_co_u32_e32 v26, vcc, v2, v26, vcc
	global_store_dwordx2 v[25:26], v[21:22], off
	v_mov_b32_e32 v25, v32
	v_mad_u64_u32 v[25:26], s[0:1], s9, v51, v[25:26]
	v_lshlrev_b64 v[21:22], 3, v[29:30]
	v_or_b32_e32 v29, 0xc00, v67
	v_mov_b32_e32 v32, v25
	v_mad_u64_u32 v[25:26], s[0:1], s8, v29, 0
	v_add_co_u32_e32 v21, vcc, v1, v21
	v_addc_co_u32_e32 v22, vcc, v2, v22, vcc
	global_store_dwordx2 v[21:22], v[49:50], off
	v_lshlrev_b64 v[21:22], 3, v[31:32]
	v_mad_u64_u32 v[29:30], s[0:1], s9, v29, v[26:27]
	v_or_b32_e32 v32, 0xe00, v67
	v_mad_u64_u32 v[30:31], s[0:1], s8, v32, 0
	v_add_co_u32_e32 v21, vcc, v1, v21
	v_addc_co_u32_e32 v22, vcc, v2, v22, vcc
	v_mov_b32_e32 v26, v29
	global_store_dwordx2 v[21:22], v[27:28], off
	v_lshlrev_b64 v[21:22], 3, v[25:26]
	v_mov_b32_e32 v25, v31
	v_mad_u64_u32 v[25:26], s[0:1], s9, v32, v[25:26]
	v_add_co_u32_e32 v21, vcc, v1, v21
	v_addc_co_u32_e32 v22, vcc, v2, v22, vcc
	v_mov_b32_e32 v31, v25
	v_or_b32_e32 v25, 0x80, v67
	global_store_dwordx2 v[21:22], v[23:24], off
	v_mad_u64_u32 v[23:24], s[0:1], s8, v25, 0
	v_or_b32_e32 v27, 0x280, v67
	v_lshlrev_b64 v[21:22], 3, v[30:31]
	v_mad_u64_u32 v[24:25], s[0:1], s9, v25, v[24:25]
	v_mad_u64_u32 v[25:26], s[0:1], s8, v27, 0
	v_add_co_u32_e32 v21, vcc, v1, v21
	v_addc_co_u32_e32 v22, vcc, v2, v22, vcc
	global_store_dwordx2 v[21:22], v[19:20], off
	v_mov_b32_e32 v21, v26
	v_mad_u64_u32 v[21:22], s[0:1], s9, v27, v[21:22]
	v_lshlrev_b64 v[19:20], 3, v[23:24]
	v_or_b32_e32 v23, 0x480, v67
	v_mov_b32_e32 v26, v21
	v_mad_u64_u32 v[21:22], s[0:1], s8, v23, 0
	v_add_co_u32_e32 v19, vcc, v1, v19
	v_addc_co_u32_e32 v20, vcc, v2, v20, vcc
	global_store_dwordx2 v[19:20], v[96:97], off
	v_lshlrev_b64 v[19:20], 3, v[25:26]
	v_mad_u64_u32 v[22:23], s[0:1], s9, v23, v[22:23]
	v_or_b32_e32 v25, 0x680, v67
	v_mad_u64_u32 v[23:24], s[0:1], s8, v25, 0
	v_add_co_u32_e32 v19, vcc, v1, v19
	v_addc_co_u32_e32 v20, vcc, v2, v20, vcc
	global_store_dwordx2 v[19:20], v[76:77], off
	v_lshlrev_b64 v[19:20], 3, v[21:22]
	v_mov_b32_e32 v21, v24
	v_mad_u64_u32 v[21:22], s[0:1], s9, v25, v[21:22]
	v_add_co_u32_e32 v19, vcc, v1, v19
	v_addc_co_u32_e32 v20, vcc, v2, v20, vcc
	v_mov_b32_e32 v24, v21
	global_store_dwordx2 v[19:20], v[72:73], off
	v_lshlrev_b64 v[19:20], 3, v[23:24]
	v_or_b32_e32 v23, 0x880, v67
	v_mad_u64_u32 v[21:22], s[0:1], s8, v23, 0
	v_or_b32_e32 v25, 0xa80, v67
	v_add_co_u32_e32 v19, vcc, v1, v19
	v_mad_u64_u32 v[22:23], s[0:1], s9, v23, v[22:23]
	v_mad_u64_u32 v[23:24], s[0:1], s8, v25, 0
	v_fma_f32 v53, v101, 2.0, -v66
	v_addc_co_u32_e32 v20, vcc, v2, v20, vcc
	global_store_dwordx2 v[19:20], v[52:53], off
	v_lshlrev_b64 v[19:20], 3, v[21:22]
	v_mov_b32_e32 v21, v24
	v_mad_u64_u32 v[21:22], s[0:1], s9, v25, v[21:22]
	v_add_co_u32_e32 v19, vcc, v1, v19
	v_addc_co_u32_e32 v20, vcc, v2, v20, vcc
	v_mov_b32_e32 v24, v21
	global_store_dwordx2 v[19:20], v[78:79], off
	v_lshlrev_b64 v[19:20], 3, v[23:24]
	v_or_b32_e32 v23, 0xc80, v67
	v_mad_u64_u32 v[21:22], s[0:1], s8, v23, 0
	v_or_b32_e32 v25, 0xe80, v67
	v_add_co_u32_e32 v19, vcc, v1, v19
	v_mad_u64_u32 v[22:23], s[0:1], s9, v23, v[22:23]
	v_mad_u64_u32 v[23:24], s[0:1], s8, v25, 0
	v_addc_co_u32_e32 v20, vcc, v2, v20, vcc
	global_store_dwordx2 v[19:20], v[74:75], off
	v_lshlrev_b64 v[19:20], 3, v[21:22]
	v_mov_b32_e32 v21, v24
	v_mad_u64_u32 v[21:22], s[0:1], s9, v25, v[21:22]
	v_add_co_u32_e32 v19, vcc, v1, v19
	v_addc_co_u32_e32 v20, vcc, v2, v20, vcc
	v_mov_b32_e32 v24, v21
	global_store_dwordx2 v[19:20], v[54:55], off
	v_lshlrev_b64 v[19:20], 3, v[23:24]
	v_or_b32_e32 v23, 0x100, v67
	v_mad_u64_u32 v[21:22], s[0:1], s8, v23, 0
	v_or_b32_e32 v25, 0x300, v67
	v_add_co_u32_e32 v19, vcc, v1, v19
	v_mad_u64_u32 v[22:23], s[0:1], s9, v23, v[22:23]
	v_mad_u64_u32 v[23:24], s[0:1], s8, v25, 0
	;; [unrolled: 16-line block ×6, first 2 shown]
	v_addc_co_u32_e32 v20, vcc, v2, v20, vcc
	global_store_dwordx2 v[19:20], v[33:34], off
	v_lshlrev_b64 v[19:20], 3, v[21:22]
	v_mov_b32_e32 v21, v24
	v_mad_u64_u32 v[21:22], s[0:1], s9, v25, v[21:22]
	v_sub_f32_e32 v12, v18, v12
	v_add_co_u32_e32 v19, vcc, v1, v19
	v_fma_f32 v18, v18, 2.0, -v12
	v_addc_co_u32_e32 v20, vcc, v2, v20, vcc
	v_mov_b32_e32 v24, v21
	v_or_b32_e32 v21, 0x580, v67
	global_store_dwordx2 v[19:20], v[17:18], off
	v_mad_u64_u32 v[19:20], s[0:1], s8, v21, 0
	v_lshlrev_b64 v[17:18], 3, v[23:24]
	v_or_b32_e32 v23, 0x780, v0
	v_mad_u64_u32 v[20:21], s[0:1], s9, v21, v[20:21]
	v_mad_u64_u32 v[21:22], s[0:1], s8, v23, 0
	v_add_co_u32_e32 v17, vcc, v1, v17
	v_addc_co_u32_e32 v18, vcc, v2, v18, vcc
	global_store_dwordx2 v[17:18], v[15:16], off
	v_mov_b32_e32 v17, v22
	v_mad_u64_u32 v[17:18], s[0:1], s9, v23, v[17:18]
	v_lshlrev_b64 v[15:16], 3, v[19:20]
	v_or_b32_e32 v19, 0xb80, v0
	v_add_co_u32_e32 v15, vcc, v1, v15
	v_addc_co_u32_e32 v16, vcc, v2, v16, vcc
	v_mov_b32_e32 v22, v17
	v_or_b32_e32 v17, 0x980, v67
	global_store_dwordx2 v[15:16], v[13:14], off
	v_mad_u64_u32 v[15:16], s[0:1], s8, v17, 0
	v_lshlrev_b64 v[13:14], 3, v[21:22]
	v_mad_u64_u32 v[16:17], s[0:1], s9, v17, v[16:17]
	v_mad_u64_u32 v[17:18], s[0:1], s8, v19, 0
	v_add_co_u32_e32 v13, vcc, v1, v13
	v_addc_co_u32_e32 v14, vcc, v2, v14, vcc
	global_store_dwordx2 v[13:14], v[9:10], off
	v_mov_b32_e32 v13, v18
	v_mad_u64_u32 v[13:14], s[0:1], s9, v19, v[13:14]
	v_lshlrev_b64 v[9:10], 3, v[15:16]
	v_or_b32_e32 v15, 0xf80, v0
	v_add_co_u32_e32 v9, vcc, v1, v9
	v_addc_co_u32_e32 v10, vcc, v2, v10, vcc
	v_mov_b32_e32 v18, v13
	v_or_b32_e32 v13, 0xd80, v67
	global_store_dwordx2 v[9:10], v[11:12], off
	v_mad_u64_u32 v[11:12], s[0:1], s8, v13, 0
	v_lshlrev_b64 v[9:10], 3, v[17:18]
	v_mad_u64_u32 v[12:13], s[0:1], s9, v13, v[12:13]
	v_mad_u64_u32 v[13:14], s[0:1], s8, v15, 0
	v_add_co_u32_e32 v9, vcc, v1, v9
	v_addc_co_u32_e32 v10, vcc, v2, v10, vcc
	v_mov_b32_e32 v0, v14
	global_store_dwordx2 v[9:10], v[7:8], off
	v_mad_u64_u32 v[9:10], s[0:1], s9, v15, v[0:1]
	v_lshlrev_b64 v[7:8], 3, v[11:12]
	v_add_co_u32_e32 v7, vcc, v1, v7
	v_addc_co_u32_e32 v8, vcc, v2, v8, vcc
	v_mov_b32_e32 v14, v9
	global_store_dwordx2 v[7:8], v[5:6], off
	v_lshlrev_b64 v[5:6], 3, v[13:14]
	v_add_co_u32_e32 v0, vcc, v1, v5
	v_addc_co_u32_e32 v1, vcc, v2, v6, vcc
	global_store_dwordx2 v[0:1], v[3:4], off
.LBB0_6:
	s_endpgm
	.section	.rodata,"a",@progbits
	.p2align	6, 0x0
	.amdhsa_kernel fft_rtc_back_len4096_factors_8_16_4_8_wgs_256_tpt_128_halfLds_dim1_sp_ip_CI_sbrr_dirReg
		.amdhsa_group_segment_fixed_size 0
		.amdhsa_private_segment_fixed_size 0
		.amdhsa_kernarg_size 80
		.amdhsa_user_sgpr_count 6
		.amdhsa_user_sgpr_private_segment_buffer 1
		.amdhsa_user_sgpr_dispatch_ptr 0
		.amdhsa_user_sgpr_queue_ptr 0
		.amdhsa_user_sgpr_kernarg_segment_ptr 1
		.amdhsa_user_sgpr_dispatch_id 0
		.amdhsa_user_sgpr_flat_scratch_init 0
		.amdhsa_user_sgpr_private_segment_size 0
		.amdhsa_uses_dynamic_stack 0
		.amdhsa_system_sgpr_private_segment_wavefront_offset 0
		.amdhsa_system_sgpr_workgroup_id_x 1
		.amdhsa_system_sgpr_workgroup_id_y 0
		.amdhsa_system_sgpr_workgroup_id_z 0
		.amdhsa_system_sgpr_workgroup_info 0
		.amdhsa_system_vgpr_workitem_id 0
		.amdhsa_next_free_vgpr 136
		.amdhsa_next_free_sgpr 20
		.amdhsa_reserve_vcc 1
		.amdhsa_reserve_flat_scratch 0
		.amdhsa_float_round_mode_32 0
		.amdhsa_float_round_mode_16_64 0
		.amdhsa_float_denorm_mode_32 3
		.amdhsa_float_denorm_mode_16_64 3
		.amdhsa_dx10_clamp 1
		.amdhsa_ieee_mode 1
		.amdhsa_fp16_overflow 0
		.amdhsa_exception_fp_ieee_invalid_op 0
		.amdhsa_exception_fp_denorm_src 0
		.amdhsa_exception_fp_ieee_div_zero 0
		.amdhsa_exception_fp_ieee_overflow 0
		.amdhsa_exception_fp_ieee_underflow 0
		.amdhsa_exception_fp_ieee_inexact 0
		.amdhsa_exception_int_div_zero 0
	.end_amdhsa_kernel
	.text
.Lfunc_end0:
	.size	fft_rtc_back_len4096_factors_8_16_4_8_wgs_256_tpt_128_halfLds_dim1_sp_ip_CI_sbrr_dirReg, .Lfunc_end0-fft_rtc_back_len4096_factors_8_16_4_8_wgs_256_tpt_128_halfLds_dim1_sp_ip_CI_sbrr_dirReg
                                        ; -- End function
	.section	.AMDGPU.csdata,"",@progbits
; Kernel info:
; codeLenInByte = 14248
; NumSgprs: 24
; NumVgprs: 136
; ScratchSize: 0
; MemoryBound: 0
; FloatMode: 240
; IeeeMode: 1
; LDSByteSize: 0 bytes/workgroup (compile time only)
; SGPRBlocks: 2
; VGPRBlocks: 33
; NumSGPRsForWavesPerEU: 24
; NumVGPRsForWavesPerEU: 136
; Occupancy: 1
; WaveLimiterHint : 1
; COMPUTE_PGM_RSRC2:SCRATCH_EN: 0
; COMPUTE_PGM_RSRC2:USER_SGPR: 6
; COMPUTE_PGM_RSRC2:TRAP_HANDLER: 0
; COMPUTE_PGM_RSRC2:TGID_X_EN: 1
; COMPUTE_PGM_RSRC2:TGID_Y_EN: 0
; COMPUTE_PGM_RSRC2:TGID_Z_EN: 0
; COMPUTE_PGM_RSRC2:TIDIG_COMP_CNT: 0
	.type	__hip_cuid_65ba894b263af896,@object ; @__hip_cuid_65ba894b263af896
	.section	.bss,"aw",@nobits
	.globl	__hip_cuid_65ba894b263af896
__hip_cuid_65ba894b263af896:
	.byte	0                               ; 0x0
	.size	__hip_cuid_65ba894b263af896, 1

	.ident	"AMD clang version 19.0.0git (https://github.com/RadeonOpenCompute/llvm-project roc-6.4.0 25133 c7fe45cf4b819c5991fe208aaa96edf142730f1d)"
	.section	".note.GNU-stack","",@progbits
	.addrsig
	.addrsig_sym __hip_cuid_65ba894b263af896
	.amdgpu_metadata
---
amdhsa.kernels:
  - .args:
      - .actual_access:  read_only
        .address_space:  global
        .offset:         0
        .size:           8
        .value_kind:     global_buffer
      - .actual_access:  read_only
        .address_space:  global
        .offset:         8
        .size:           8
        .value_kind:     global_buffer
      - .actual_access:  read_only
        .address_space:  global
        .offset:         16
        .size:           8
        .value_kind:     global_buffer
      - .offset:         24
        .size:           8
        .value_kind:     by_value
      - .actual_access:  read_only
        .address_space:  global
        .offset:         32
        .size:           8
        .value_kind:     global_buffer
      - .actual_access:  read_only
        .address_space:  global
        .offset:         40
        .size:           8
        .value_kind:     global_buffer
      - .offset:         48
        .size:           4
        .value_kind:     by_value
      - .actual_access:  read_only
        .address_space:  global
        .offset:         56
        .size:           8
        .value_kind:     global_buffer
      - .actual_access:  read_only
        .address_space:  global
        .offset:         64
        .size:           8
        .value_kind:     global_buffer
      - .address_space:  global
        .offset:         72
        .size:           8
        .value_kind:     global_buffer
    .group_segment_fixed_size: 0
    .kernarg_segment_align: 8
    .kernarg_segment_size: 80
    .language:       OpenCL C
    .language_version:
      - 2
      - 0
    .max_flat_workgroup_size: 256
    .name:           fft_rtc_back_len4096_factors_8_16_4_8_wgs_256_tpt_128_halfLds_dim1_sp_ip_CI_sbrr_dirReg
    .private_segment_fixed_size: 0
    .sgpr_count:     24
    .sgpr_spill_count: 0
    .symbol:         fft_rtc_back_len4096_factors_8_16_4_8_wgs_256_tpt_128_halfLds_dim1_sp_ip_CI_sbrr_dirReg.kd
    .uniform_work_group_size: 1
    .uses_dynamic_stack: false
    .vgpr_count:     136
    .vgpr_spill_count: 0
    .wavefront_size: 64
amdhsa.target:   amdgcn-amd-amdhsa--gfx906
amdhsa.version:
  - 1
  - 2
...

	.end_amdgpu_metadata
